;; amdgpu-corpus repo=ROCm/rocFFT kind=compiled arch=gfx1201 opt=O3
	.text
	.amdgcn_target "amdgcn-amd-amdhsa--gfx1201"
	.amdhsa_code_object_version 6
	.protected	bluestein_single_fwd_len1200_dim1_half_op_CI_CI ; -- Begin function bluestein_single_fwd_len1200_dim1_half_op_CI_CI
	.globl	bluestein_single_fwd_len1200_dim1_half_op_CI_CI
	.p2align	8
	.type	bluestein_single_fwd_len1200_dim1_half_op_CI_CI,@function
bluestein_single_fwd_len1200_dim1_half_op_CI_CI: ; @bluestein_single_fwd_len1200_dim1_half_op_CI_CI
; %bb.0:
	s_load_b128 s[8:11], s[0:1], 0x28
	v_mul_u32_u24_e32 v1, 0x36a, v0
	s_mov_b32 s2, exec_lo
	s_delay_alu instid0(VALU_DEP_1) | instskip(NEXT) | instid1(VALU_DEP_1)
	v_lshrrev_b32_e32 v1, 16, v1
	v_mad_co_u64_u32 v[33:34], null, ttmp9, 3, v[1:2]
	v_mov_b32_e32 v34, 0
	s_wait_kmcnt 0x0
	s_delay_alu instid0(VALU_DEP_1)
	v_cmpx_gt_u64_e64 s[8:9], v[33:34]
	s_cbranch_execz .LBB0_31
; %bb.1:
	s_clause 0x1
	s_load_b128 s[4:7], s[0:1], 0x18
	s_load_b64 s[16:17], s[0:1], 0x0
	v_mul_lo_u16 v1, 0x4b, v1
	s_delay_alu instid0(VALU_DEP_1) | instskip(NEXT) | instid1(VALU_DEP_1)
	v_sub_nc_u16 v7, v0, v1
	v_and_b32_e32 v90, 0xffff, v7
	s_wait_kmcnt 0x0
	s_load_b128 s[12:15], s[4:5], 0x0
	s_wait_kmcnt 0x0
	v_mad_co_u64_u32 v[0:1], null, s14, v33, 0
	v_mad_co_u64_u32 v[2:3], null, s12, v90, 0
	s_mul_u64 s[2:3], s[12:13], 0xf0
	s_delay_alu instid0(VALU_DEP_1) | instskip(SKIP_3) | instid1(SALU_CYCLE_1)
	v_mad_co_u64_u32 v[4:5], null, s15, v33, v[1:2]
	s_lshl_b64 s[14:15], s[2:3], 2
	s_movk_i32 s2, 0xfc8b
	s_mov_b32 s3, -1
	s_mul_u64 s[2:3], s[12:13], s[2:3]
	s_delay_alu instid0(VALU_DEP_1) | instskip(SKIP_3) | instid1(VALU_DEP_3)
	v_mov_b32_e32 v1, v4
	v_mad_co_u64_u32 v[5:6], null, s13, v90, v[3:4]
	v_lshlrev_b32_e32 v62, 2, v90
	s_lshl_b64 s[2:3], s[2:3], 2
	v_lshlrev_b64_e32 v[0:1], 2, v[0:1]
	s_delay_alu instid0(VALU_DEP_3)
	v_mov_b32_e32 v3, v5
	s_clause 0x1
	global_load_b32 v92, v62, s[16:17]
	global_load_b32 v85, v62, s[16:17] offset:300
	v_add_co_u32 v0, vcc_lo, s10, v0
	v_add_co_ci_u32_e32 v1, vcc_lo, s11, v1, vcc_lo
	v_lshlrev_b64_e32 v[2:3], 2, v[2:3]
	s_clause 0xc
	global_load_b32 v83, v62, s[16:17] offset:1260
	global_load_b32 v81, v62, s[16:17] offset:2220
	;; [unrolled: 1-line block ×13, first 2 shown]
	v_add_co_u32 v0, vcc_lo, v0, v2
	s_wait_alu 0xfffd
	v_add_co_ci_u32_e32 v1, vcc_lo, v1, v3, vcc_lo
	s_wait_alu 0xfffe
	s_delay_alu instid0(VALU_DEP_2) | instskip(SKIP_1) | instid1(VALU_DEP_2)
	v_add_co_u32 v2, vcc_lo, v0, s14
	s_wait_alu 0xfffd
	v_add_co_ci_u32_e32 v3, vcc_lo, s15, v1, vcc_lo
	s_clause 0x1
	global_load_b32 v5, v[0:1], off
	global_load_b32 v6, v[2:3], off
	v_add_co_u32 v0, vcc_lo, v2, s14
	s_wait_alu 0xfffd
	v_add_co_ci_u32_e32 v1, vcc_lo, s15, v3, vcc_lo
	global_load_b32 v8, v[0:1], off
	v_add_co_u32 v0, vcc_lo, v0, s14
	s_wait_alu 0xfffd
	v_add_co_ci_u32_e32 v1, vcc_lo, s15, v1, vcc_lo
	s_delay_alu instid0(VALU_DEP_2) | instskip(SKIP_1) | instid1(VALU_DEP_2)
	v_add_co_u32 v2, vcc_lo, v0, s14
	s_wait_alu 0xfffd
	v_add_co_ci_u32_e32 v3, vcc_lo, s15, v1, vcc_lo
	s_clause 0x1
	global_load_b32 v9, v[0:1], off
	global_load_b32 v10, v[2:3], off
	v_add_co_u32 v0, vcc_lo, v2, s2
	s_wait_alu 0xfffd
	v_add_co_ci_u32_e32 v1, vcc_lo, s3, v3, vcc_lo
	s_delay_alu instid0(VALU_DEP_2) | instskip(SKIP_1) | instid1(VALU_DEP_2)
	v_add_co_u32 v2, vcc_lo, v0, s14
	s_wait_alu 0xfffd
	v_add_co_ci_u32_e32 v3, vcc_lo, s15, v1, vcc_lo
	global_load_b32 v11, v[0:1], off
	global_load_b32 v12, v[2:3], off
	v_add_co_u32 v0, vcc_lo, v2, s14
	s_wait_alu 0xfffd
	v_add_co_ci_u32_e32 v1, vcc_lo, s15, v3, vcc_lo
	global_load_b32 v13, v[0:1], off
	v_add_co_u32 v0, vcc_lo, v0, s14
	s_wait_alu 0xfffd
	v_add_co_ci_u32_e32 v1, vcc_lo, s15, v1, vcc_lo
	s_delay_alu instid0(VALU_DEP_2) | instskip(SKIP_1) | instid1(VALU_DEP_2)
	v_add_co_u32 v2, vcc_lo, v0, s14
	s_wait_alu 0xfffd
	v_add_co_ci_u32_e32 v3, vcc_lo, s15, v1, vcc_lo
	global_load_b32 v15, v[0:1], off
	global_load_b32 v16, v[2:3], off
	v_add_co_u32 v0, vcc_lo, v2, s2
	s_wait_alu 0xfffd
	v_add_co_ci_u32_e32 v1, vcc_lo, s3, v3, vcc_lo
	s_delay_alu instid0(VALU_DEP_2) | instskip(SKIP_1) | instid1(VALU_DEP_2)
	v_add_co_u32 v2, vcc_lo, v0, s14
	s_wait_alu 0xfffd
	v_add_co_ci_u32_e32 v3, vcc_lo, s15, v1, vcc_lo
	global_load_b32 v17, v[0:1], off
	v_add_co_u32 v0, vcc_lo, v2, s14
	s_wait_alu 0xfffd
	v_add_co_ci_u32_e32 v1, vcc_lo, s15, v3, vcc_lo
	global_load_b32 v18, v[2:3], off
	;; [unrolled: 4-line block ×4, first 2 shown]
	global_load_b32 v20, v[0:1], off
	v_mul_hi_u32 v2, 0xaaaaaaab, v33
	s_load_b64 s[4:5], s[0:1], 0x38
	s_load_b128 s[8:11], s[6:7], 0x0
	v_add_co_u32 v31, s6, s16, v62
	s_delay_alu instid0(VALU_DEP_1) | instskip(SKIP_1) | instid1(VALU_DEP_4)
	v_add_co_ci_u32_e64 v32, null, s17, 0, s6
	v_cmp_gt_u16_e32 vcc_lo, 15, v7
	v_lshrrev_b32_e32 v2, 1, v2
	s_delay_alu instid0(VALU_DEP_1) | instskip(NEXT) | instid1(VALU_DEP_1)
	v_lshl_add_u32 v2, v2, 1, v2
	v_sub_nc_u32_e32 v2, v33, v2
	s_delay_alu instid0(VALU_DEP_1) | instskip(NEXT) | instid1(VALU_DEP_1)
	v_mul_u32_u24_e32 v2, 0x4b0, v2
	v_lshlrev_b32_e32 v100, 2, v2
	s_delay_alu instid0(VALU_DEP_1) | instskip(NEXT) | instid1(VALU_DEP_1)
	v_add_nc_u32_e32 v67, v62, v100
	v_add_nc_u32_e32 v4, 0x400, v67
	;; [unrolled: 1-line block ×4, first 2 shown]
	s_wait_loadcnt 0x1d
	v_lshrrev_b32_e32 v98, 16, v92
	s_wait_loadcnt 0x1c
	v_lshrrev_b32_e32 v87, 16, v85
	;; [unrolled: 2-line block ×4, first 2 shown]
	v_lshrrev_b32_e32 v96, 16, v94
	s_wait_loadcnt 0x12
	v_lshrrev_b32_e32 v89, 16, v88
	s_wait_loadcnt 0x10
	v_lshrrev_b32_e32 v93, 16, v91
	v_lshrrev_b32_e32 v84, 16, v81
	;; [unrolled: 1-line block ×6, first 2 shown]
	s_wait_loadcnt 0xf
	v_lshrrev_b32_e32 v73, 16, v72
	v_lshrrev_b32_e32 v71, 16, v69
	v_lshrrev_b32_e32 v70, 16, v68
	s_wait_loadcnt 0xe
	v_lshrrev_b32_e32 v21, 16, v5
	v_mul_f16_e32 v22, v98, v5
	s_wait_loadcnt 0xd
	v_lshrrev_b32_e32 v24, 16, v6
	v_mul_f16_e32 v25, v97, v6
	v_mul_f16_e32 v23, v98, v21
	v_fma_f16 v21, v92, v21, -v22
	s_delay_alu instid0(VALU_DEP_2)
	v_fmac_f16_e32 v23, v92, v5
	v_mul_f16_e32 v5, v97, v24
	s_wait_loadcnt 0xc
	v_lshrrev_b32_e32 v22, 16, v8
	v_fma_f16 v24, v95, v24, -v25
	v_mul_f16_e32 v25, v96, v8
	v_pack_b32_f16 v21, v23, v21
	v_fmac_f16_e32 v5, v95, v6
	v_mul_f16_e32 v6, v96, v22
	s_delay_alu instid0(VALU_DEP_4)
	v_fma_f16 v22, v94, v22, -v25
	s_wait_loadcnt 0xb
	v_lshrrev_b32_e32 v23, 16, v9
	v_mul_f16_e32 v25, v93, v9
	v_pack_b32_f16 v5, v5, v24
	v_fmac_f16_e32 v6, v94, v8
	s_wait_loadcnt 0xa
	v_lshrrev_b32_e32 v24, 16, v10
	v_mul_f16_e32 v8, v93, v23
	v_fma_f16 v23, v91, v23, -v25
	v_mul_f16_e32 v25, v89, v10
	v_pack_b32_f16 v6, v6, v22
	s_delay_alu instid0(VALU_DEP_4) | instskip(SKIP_1) | instid1(VALU_DEP_4)
	v_fmac_f16_e32 v8, v91, v9
	v_mul_f16_e32 v9, v89, v24
	v_fma_f16 v24, v88, v24, -v25
	s_wait_loadcnt 0x9
	v_lshrrev_b32_e32 v22, 16, v11
	v_mul_f16_e32 v25, v87, v11
	v_pack_b32_f16 v8, v8, v23
	v_fmac_f16_e32 v9, v88, v10
	s_wait_loadcnt 0x8
	v_lshrrev_b32_e32 v23, 16, v12
	v_mul_f16_e32 v10, v87, v22
	v_mul_f16_e32 v26, v86, v12
	v_fma_f16 v22, v85, v22, -v25
	v_pack_b32_f16 v9, v9, v24
	s_wait_loadcnt 0x7
	v_lshrrev_b32_e32 v24, 16, v13
	v_fmac_f16_e32 v10, v85, v11
	v_mul_f16_e32 v11, v86, v23
	v_fma_f16 v23, v83, v23, -v26
	ds_store_b32 v67, v5 offset:960
	ds_store_b32 v67, v6 offset:1920
	;; [unrolled: 1-line block ×4, first 2 shown]
	v_mul_f16_e32 v25, v84, v13
	v_pack_b32_f16 v5, v10, v22
	v_fmac_f16_e32 v11, v83, v12
	v_mul_f16_e32 v6, v84, v24
	s_delay_alu instid0(VALU_DEP_4)
	v_fma_f16 v8, v81, v24, -v25
	s_wait_loadcnt 0x6
	v_lshrrev_b32_e32 v9, 16, v15
	v_mul_f16_e32 v10, v82, v15
	ds_store_2addr_b32 v67, v21, v5 offset1:75
	v_pack_b32_f16 v5, v11, v23
	v_fmac_f16_e32 v6, v81, v13
	v_mul_f16_e32 v11, v82, v9
	s_wait_loadcnt 0x5
	v_lshrrev_b32_e32 v12, 16, v16
	v_fma_f16 v9, v79, v9, -v10
	v_mul_f16_e32 v10, v80, v16
	v_pack_b32_f16 v6, v6, v8
	v_fmac_f16_e32 v11, v79, v15
	s_wait_loadcnt 0x4
	v_lshrrev_b32_e32 v13, 16, v17
	v_mul_f16_e32 v8, v80, v12
	v_fma_f16 v10, v78, v12, -v10
	v_mul_f16_e32 v12, v77, v17
	v_pack_b32_f16 v9, v11, v9
	v_mul_f16_e32 v11, v77, v13
	v_fmac_f16_e32 v8, v78, v16
	s_wait_loadcnt 0x3
	v_lshrrev_b32_e32 v15, 16, v18
	v_mul_f16_e32 v16, v75, v18
	v_fma_f16 v12, v76, v13, -v12
	v_fmac_f16_e32 v11, v76, v17
	v_pack_b32_f16 v8, v8, v10
	v_mul_f16_e32 v10, v75, v15
	v_fma_f16 v13, v74, v15, -v16
	s_wait_loadcnt 0x2
	v_lshrrev_b32_e32 v15, 16, v19
	v_mul_f16_e32 v16, v73, v19
	v_pack_b32_f16 v11, v11, v12
	s_wait_loadcnt 0x1
	v_lshrrev_b32_e32 v12, 16, v3
	v_fmac_f16_e32 v10, v74, v18
	s_wait_loadcnt 0x0
	v_lshrrev_b32_e32 v18, 16, v20
	v_mul_f16_e32 v17, v73, v15
	v_fma_f16 v15, v72, v15, -v16
	v_mul_f16_e32 v16, v71, v3
	v_mul_f16_e32 v21, v71, v12
	;; [unrolled: 1-line block ×4, first 2 shown]
	v_fmac_f16_e32 v17, v72, v19
	v_fma_f16 v12, v69, v12, -v16
	v_fmac_f16_e32 v21, v69, v3
	v_fma_f16 v3, v68, v18, -v22
	v_fmac_f16_e32 v23, v68, v20
	v_pack_b32_f16 v10, v10, v13
	ds_store_b32 v67, v11 offset:600
	v_pack_b32_f16 v11, v17, v15
	v_pack_b32_f16 v12, v21, v12
	;; [unrolled: 1-line block ×3, first 2 shown]
	v_add_nc_u32_e32 v13, 0x1000, v67
	ds_store_2addr_b32 v4, v5, v10 offset0:59 offset1:134
	ds_store_2addr_b32 v2, v6, v11 offset0:43 offset1:118
	;; [unrolled: 1-line block ×4, first 2 shown]
	s_and_saveexec_b32 s6, vcc_lo
	s_cbranch_execz .LBB0_3
; %bb.2:
	v_add_co_u32 v0, s2, v0, s2
	s_wait_alu 0xf1ff
	v_add_co_ci_u32_e64 v1, s2, s3, v1, s2
	s_delay_alu instid0(VALU_DEP_2) | instskip(SKIP_1) | instid1(VALU_DEP_2)
	v_add_co_u32 v5, s2, v0, s14
	s_wait_alu 0xf1ff
	v_add_co_ci_u32_e64 v6, s2, s15, v1, s2
	global_load_b32 v3, v[0:1], off
	global_load_b32 v7, v[5:6], off
	s_clause 0x3
	global_load_b32 v8, v[31:32], off offset:900
	global_load_b32 v9, v[31:32], off offset:1860
	;; [unrolled: 1-line block ×4, first 2 shown]
	v_add_co_u32 v0, s2, v5, s14
	s_wait_alu 0xf1ff
	v_add_co_ci_u32_e64 v1, s2, s15, v6, s2
	global_load_b32 v12, v[31:32], off offset:4740
	v_add_co_u32 v5, s2, v0, s14
	s_wait_alu 0xf1ff
	v_add_co_ci_u32_e64 v6, s2, s15, v1, s2
	global_load_b32 v13, v[0:1], off
	v_add_co_u32 v0, s2, v5, s14
	s_wait_alu 0xf1ff
	v_add_co_ci_u32_e64 v1, s2, s15, v6, s2
	global_load_b32 v5, v[5:6], off
	global_load_b32 v0, v[0:1], off
	s_wait_loadcnt 0x9
	v_lshrrev_b32_e32 v6, 16, v3
	s_wait_loadcnt 0x8
	v_lshrrev_b32_e32 v19, 16, v7
	;; [unrolled: 2-line block ×6, first 2 shown]
	v_mul_f16_e32 v18, v1, v3
	v_mul_f16_e32 v1, v1, v6
	;; [unrolled: 1-line block ×3, first 2 shown]
	s_wait_loadcnt 0x3
	v_lshrrev_b32_e32 v20, 16, v12
	v_fma_f16 v6, v8, v6, -v18
	v_fmac_f16_e32 v1, v8, v3
	v_mul_f16_e32 v3, v15, v19
	s_wait_loadcnt 0x2
	v_lshrrev_b32_e32 v8, 16, v13
	v_fma_f16 v15, v9, v19, -v21
	v_mul_f16_e32 v18, v16, v13
	v_pack_b32_f16 v1, v1, v6
	v_fmac_f16_e32 v3, v9, v7
	v_mul_f16_e32 v6, v16, v8
	s_wait_loadcnt 0x1
	v_lshrrev_b32_e32 v7, 16, v5
	s_wait_loadcnt 0x0
	v_lshrrev_b32_e32 v9, 16, v0
	v_mul_f16_e32 v16, v17, v5
	v_pack_b32_f16 v3, v3, v15
	v_fma_f16 v8, v10, v8, -v18
	v_mul_f16_e32 v15, v17, v7
	v_mul_f16_e32 v17, v20, v9
	;; [unrolled: 1-line block ×3, first 2 shown]
	v_fmac_f16_e32 v6, v10, v13
	v_fma_f16 v7, v11, v7, -v16
	v_fmac_f16_e32 v15, v11, v5
	v_fmac_f16_e32 v17, v12, v0
	v_fma_f16 v0, v12, v9, -v18
	v_add_nc_u32_e32 v5, 0x380, v67
	v_pack_b32_f16 v6, v6, v8
	v_pack_b32_f16 v7, v15, v7
	v_add_nc_u32_e32 v8, 0xb00, v67
	v_pack_b32_f16 v0, v17, v0
	ds_store_2addr_b32 v5, v1, v3 offset0:1 offset1:241
	ds_store_2addr_b32 v8, v6, v7 offset0:1 offset1:241
	ds_store_b32 v67, v0 offset:4740
.LBB0_3:
	s_wait_alu 0xfffe
	s_or_b32 exec_lo, exec_lo, s6
	v_add_nc_u32_e32 v0, 0x600, v67
	v_add_nc_u32_e32 v1, 0xe00, v67
	global_wb scope:SCOPE_SE
	s_wait_dscnt 0x0
	s_wait_kmcnt 0x0
	s_barrier_signal -1
	s_barrier_wait -1
	global_inv scope:SCOPE_SE
	ds_load_2addr_b32 v[12:13], v67 offset1:75
	ds_load_2addr_b32 v[6:7], v67 offset0:150 offset1:240
	ds_load_2addr_b32 v[10:11], v0 offset0:96 offset1:171
	;; [unrolled: 1-line block ×6, first 2 shown]
	ds_load_b32 v18, v67 offset:4440
                                        ; implicit-def: $vgpr14
                                        ; implicit-def: $vgpr17
                                        ; implicit-def: $vgpr19
	s_and_saveexec_b32 s2, vcc_lo
	s_cbranch_execz .LBB0_5
; %bb.4:
	v_add_nc_u32_e32 v14, 0x380, v67
	v_add_nc_u32_e32 v15, 0xb00, v67
	ds_load_2addr_b32 v[16:17], v14 offset0:1 offset1:241
	ds_load_2addr_b32 v[14:15], v15 offset0:1 offset1:241
	ds_load_b32 v19, v67 offset:4740
.LBB0_5:
	s_wait_alu 0xfffe
	s_or_b32 exec_lo, exec_lo, s2
	s_wait_dscnt 0x0
	v_pk_add_f16 v22, v17, v19 neg_lo:[0,1] neg_hi:[0,1]
	v_pk_add_f16 v26, v14, v15
	v_pk_add_f16 v24, v14, v15 neg_lo:[0,1] neg_hi:[0,1]
	v_pk_add_f16 v25, v17, v16
	v_pk_add_f16 v27, v17, v19
	v_pk_mul_f16 v30, 0x3b9c, v22 op_sel_hi:[0,1]
	v_pk_fma_f16 v26, v26, 0.5, v16 op_sel_hi:[1,0,1] neg_lo:[1,0,0] neg_hi:[1,0,0]
	v_pk_mul_f16 v34, 0x38b4, v24 op_sel_hi:[0,1]
	v_pk_add_f16 v25, v14, v25
	v_pk_fma_f16 v16, v27, 0.5, v16 op_sel_hi:[1,0,1] neg_lo:[1,0,0] neg_hi:[1,0,0]
	v_pk_mul_f16 v24, 0x3b9c, v24 op_sel_hi:[0,1]
	v_pk_add_f16 v27, v26, v30 op_sel:[0,1] op_sel_hi:[1,0] neg_lo:[0,1] neg_hi:[0,1]
	v_pk_add_f16 v26, v26, v30 op_sel:[0,1] op_sel_hi:[1,0]
	v_pk_add_f16 v28, v14, v17 neg_lo:[0,1] neg_hi:[0,1]
	v_pk_add_f16 v29, v15, v19 neg_lo:[0,1] neg_hi:[0,1]
	;; [unrolled: 1-line block ×4, first 2 shown]
	v_pk_add_f16 v30, v16, v24 op_sel:[0,1] op_sel_hi:[1,0] neg_lo:[0,1] neg_hi:[0,1]
	v_pk_mul_f16 v22, 0x38b4, v22 op_sel_hi:[0,1]
	v_pk_add_f16 v15, v15, v25
	v_pk_add_f16 v25, v27, v34 op_sel:[0,1] op_sel_hi:[1,0] neg_lo:[0,1] neg_hi:[0,1]
	v_pk_add_f16 v26, v26, v34 op_sel:[0,1] op_sel_hi:[1,0]
	v_pk_add_f16 v14, v14, v17
	v_pk_add_f16 v17, v22, v30 op_sel:[1,0] op_sel_hi:[0,1]
	v_pk_add_f16 v24, v24, v16 op_sel:[1,0] op_sel_hi:[0,1]
	v_pk_add_f16 v27, v28, v29
	v_bfi_b32 v28, 0xffff, v26, v25
	v_bfi_b32 v25, 0xffff, v25, v26
	v_pk_add_f16 v16, v19, v15
	v_pk_add_f16 v15, v24, v22 op_sel:[0,1] op_sel_hi:[1,0] neg_lo:[0,1] neg_hi:[0,1]
	v_pk_fma_f16 v22, 0x34f2, v27, v17 op_sel_hi:[0,1,1]
	v_pk_fma_f16 v17, 0x34f2, v14, v28 op_sel_hi:[0,1,1]
	;; [unrolled: 1-line block ×3, first 2 shown]
	v_mul_lo_u16 v14, v90, 5
	v_pk_fma_f16 v42, 0x34f2, v27, v15 op_sel_hi:[0,1,1]
	v_pk_add_f16 v15, v10, v3
	v_pk_add_f16 v19, v7, v8 neg_lo:[0,1] neg_hi:[0,1]
	s_load_b64 s[2:3], s[0:1], 0x8
	v_and_b32_e32 v14, 0xffff, v14
	v_add_co_u32 v40, s0, 0x4b, v90
	v_pk_fma_f16 v15, v15, 0.5, v12 op_sel_hi:[1,0,1] neg_lo:[1,0,0] neg_hi:[1,0,0]
	v_pk_mul_f16 v24, 0x3b9c, v19 op_sel_hi:[0,1]
	s_delay_alu instid0(VALU_DEP_4)
	v_lshl_add_u32 v101, v14, 2, v100
	v_pk_add_f16 v14, v10, v3 neg_lo:[0,1] neg_hi:[0,1]
	v_pk_add_f16 v25, v7, v8
	s_wait_alu 0xf1ff
	v_add_co_ci_u32_e64 v20, null, 0, 0, s0
	v_add_co_u32 v39, s0, 0x96, v90
	s_wait_alu 0xf1ff
	v_add_co_ci_u32_e64 v20, null, 0, 0, s0
	v_pk_add_f16 v20, v12, v7
	v_pk_mul_f16 v26, 0x38b4, v14 op_sel_hi:[0,1]
	v_pk_add_f16 v28, v15, v24 op_sel:[0,1] op_sel_hi:[1,0]
	v_pk_fma_f16 v12, v25, 0.5, v12 op_sel_hi:[1,0,1] neg_lo:[1,0,0] neg_hi:[1,0,0]
	v_pk_mul_f16 v14, 0x3b9c, v14 op_sel_hi:[0,1]
	v_pk_add_f16 v15, v15, v24 op_sel:[0,1] op_sel_hi:[1,0] neg_lo:[0,1] neg_hi:[0,1]
	v_pk_mul_f16 v19, 0x38b4, v19 op_sel_hi:[0,1]
	v_pk_add_f16 v24, v28, v26 op_sel:[0,1] op_sel_hi:[1,0]
	v_pk_add_f16 v20, v20, v10
	v_pk_add_f16 v28, v12, v14 op_sel:[0,1] op_sel_hi:[1,0] neg_lo:[0,1] neg_hi:[0,1]
	v_pk_add_f16 v12, v12, v14 op_sel:[0,1] op_sel_hi:[1,0]
	v_pk_add_f16 v27, v7, v10 neg_lo:[0,1] neg_hi:[0,1]
	v_pk_add_f16 v25, v8, v3 neg_lo:[0,1] neg_hi:[0,1]
	v_pk_add_f16 v14, v15, v26 op_sel:[0,1] op_sel_hi:[1,0] neg_lo:[0,1] neg_hi:[0,1]
	v_pk_add_f16 v7, v10, v7 neg_lo:[0,1] neg_hi:[0,1]
	v_pk_add_f16 v10, v3, v8 neg_lo:[0,1] neg_hi:[0,1]
	v_pk_add_f16 v15, v28, v19 op_sel:[0,1] op_sel_hi:[1,0]
	v_pk_add_f16 v12, v12, v19 op_sel:[0,1] op_sel_hi:[1,0] neg_lo:[0,1] neg_hi:[0,1]
	v_pk_add_f16 v3, v20, v3
	v_pk_add_f16 v19, v27, v25
	v_bfi_b32 v20, 0xffff, v24, v14
	v_pk_add_f16 v7, v7, v10
	v_bfi_b32 v10, 0xffff, v15, v12
	v_bfi_b32 v12, 0xffff, v12, v15
	;; [unrolled: 1-line block ×3, first 2 shown]
	v_pk_add_f16 v3, v3, v8
	v_pk_fma_f16 v8, 0x34f2, v19, v20 op_sel_hi:[0,1,1]
	v_pk_fma_f16 v10, 0x34f2, v7, v10 op_sel_hi:[0,1,1]
	;; [unrolled: 1-line block ×4, first 2 shown]
	v_pk_add_f16 v14, v11, v0
	v_pk_add_f16 v15, v4, v9 neg_lo:[0,1] neg_hi:[0,1]
	v_pk_add_f16 v21, v13, v4
	global_wb scope:SCOPE_SE
	s_wait_kmcnt 0x0
	s_barrier_signal -1
	s_barrier_wait -1
	global_inv scope:SCOPE_SE
	ds_store_2addr_b32 v101, v3, v8 offset1:1
	ds_store_2addr_b32 v101, v10, v7 offset0:2 offset1:3
	ds_store_b32 v101, v12 offset:16
	v_pk_add_f16 v7, v11, v0 neg_lo:[0,1] neg_hi:[0,1]
	v_pk_fma_f16 v8, v14, 0.5, v13 op_sel_hi:[1,0,1] neg_lo:[1,0,0] neg_hi:[1,0,0]
	v_pk_mul_f16 v10, 0x3b9c, v15 op_sel_hi:[0,1]
	v_pk_add_f16 v12, v4, v9
	v_pk_add_f16 v14, v21, v11
	v_pk_mul_f16 v19, 0x38b4, v7 op_sel_hi:[0,1]
	v_pk_mul_f16 v7, 0x3b9c, v7 op_sel_hi:[0,1]
	v_pk_add_f16 v21, v8, v10 op_sel:[0,1] op_sel_hi:[1,0]
	v_pk_fma_f16 v12, v12, 0.5, v13 op_sel_hi:[1,0,1] neg_lo:[1,0,0] neg_hi:[1,0,0]
	v_pk_add_f16 v8, v8, v10 op_sel:[0,1] op_sel_hi:[1,0] neg_lo:[0,1] neg_hi:[0,1]
	v_pk_mul_f16 v15, 0x38b4, v15 op_sel_hi:[0,1]
	v_mul_u32_u24_e32 v3, 5, v40
	v_pk_add_f16 v10, v21, v19 op_sel:[0,1] op_sel_hi:[1,0]
	v_pk_add_f16 v21, v12, v7 op_sel:[0,1] op_sel_hi:[1,0] neg_lo:[0,1] neg_hi:[0,1]
	v_pk_add_f16 v7, v12, v7 op_sel:[0,1] op_sel_hi:[1,0]
	v_pk_add_f16 v20, v4, v11 neg_lo:[0,1] neg_hi:[0,1]
	v_pk_add_f16 v4, v11, v4 neg_lo:[0,1] neg_hi:[0,1]
	;; [unrolled: 1-line block ×3, first 2 shown]
	v_pk_add_f16 v12, v21, v15 op_sel:[0,1] op_sel_hi:[1,0]
	v_pk_add_f16 v7, v7, v15 op_sel:[0,1] op_sel_hi:[1,0] neg_lo:[0,1] neg_hi:[0,1]
	v_pk_add_f16 v13, v9, v0 neg_lo:[0,1] neg_hi:[0,1]
	v_pk_add_f16 v8, v8, v19 op_sel:[0,1] op_sel_hi:[1,0] neg_lo:[0,1] neg_hi:[0,1]
	v_pk_add_f16 v0, v14, v0
	v_pk_add_f16 v4, v4, v11
	v_bfi_b32 v11, 0xffff, v12, v7
	v_lshl_add_u32 v102, v3, 2, v100
	v_bfi_b32 v3, 0xffff, v7, v12
	v_pk_add_f16 v13, v20, v13
	v_bfi_b32 v14, 0xffff, v10, v8
	v_pk_add_f16 v0, v0, v9
	v_pk_fma_f16 v9, 0x34f2, v4, v11 op_sel_hi:[0,1,1]
	v_bfi_b32 v8, 0xffff, v8, v10
	v_mul_u32_u24_e32 v10, 5, v39
	v_pk_fma_f16 v3, 0x34f2, v4, v3 op_sel_hi:[0,1,1]
	v_pk_add_f16 v4, v2, v1
	v_pk_add_f16 v11, v5, v18 neg_lo:[0,1] neg_hi:[0,1]
	v_pk_fma_f16 v7, 0x34f2, v13, v14 op_sel_hi:[0,1,1]
	v_pk_fma_f16 v8, 0x34f2, v13, v8 op_sel_hi:[0,1,1]
	v_lshl_add_u32 v103, v10, 2, v100
	v_pk_add_f16 v10, v2, v1 neg_lo:[0,1] neg_hi:[0,1]
	v_pk_fma_f16 v4, v4, 0.5, v6 op_sel_hi:[1,0,1] neg_lo:[1,0,0] neg_hi:[1,0,0]
	v_pk_mul_f16 v12, 0x3b9c, v11 op_sel_hi:[0,1]
	v_pk_add_f16 v13, v5, v18
	v_pk_add_f16 v23, v6, v5
	v_pk_mul_f16 v15, 0x38b4, v10 op_sel_hi:[0,1]
	v_pk_mul_f16 v10, 0x3b9c, v10 op_sel_hi:[0,1]
	v_pk_add_f16 v20, v4, v12 op_sel:[0,1] op_sel_hi:[1,0]
	v_pk_fma_f16 v6, v13, 0.5, v6 op_sel_hi:[1,0,1] neg_lo:[1,0,0] neg_hi:[1,0,0]
	v_pk_add_f16 v4, v4, v12 op_sel:[0,1] op_sel_hi:[1,0] neg_lo:[0,1] neg_hi:[0,1]
	v_pk_mul_f16 v11, 0x38b4, v11 op_sel_hi:[0,1]
	v_pk_add_f16 v14, v23, v2
	v_pk_add_f16 v12, v20, v15 op_sel:[0,1] op_sel_hi:[1,0]
	v_pk_add_f16 v20, v6, v10 op_sel:[0,1] op_sel_hi:[1,0] neg_lo:[0,1] neg_hi:[0,1]
	v_pk_add_f16 v6, v6, v10 op_sel:[0,1] op_sel_hi:[1,0]
	v_pk_add_f16 v19, v5, v2 neg_lo:[0,1] neg_hi:[0,1]
	v_pk_add_f16 v13, v18, v1 neg_lo:[0,1] neg_hi:[0,1]
	v_pk_add_f16 v4, v4, v15 op_sel:[0,1] op_sel_hi:[1,0] neg_lo:[0,1] neg_hi:[0,1]
	v_pk_add_f16 v2, v2, v5 neg_lo:[0,1] neg_hi:[0,1]
	v_pk_add_f16 v5, v1, v18 neg_lo:[0,1] neg_hi:[0,1]
	v_pk_add_f16 v10, v20, v11 op_sel:[0,1] op_sel_hi:[1,0]
	v_pk_add_f16 v6, v6, v11 op_sel:[0,1] op_sel_hi:[1,0] neg_lo:[0,1] neg_hi:[0,1]
	v_add_co_u32 v38, null, 0xe1, v90
	v_pk_add_f16 v1, v14, v1
	v_pk_add_f16 v11, v19, v13
	v_bfi_b32 v13, 0xffff, v12, v4
	v_pk_add_f16 v2, v2, v5
	v_bfi_b32 v5, 0xffff, v10, v6
	v_bfi_b32 v6, 0xffff, v6, v10
	v_lshrrev_b32_e32 v41, 16, v22
	v_bfi_b32 v4, 0xffff, v4, v12
	v_mul_u32_u24_e32 v104, 5, v38
	v_pk_add_f16 v1, v1, v18
	v_pk_fma_f16 v10, 0x34f2, v11, v13 op_sel_hi:[0,1,1]
	v_pk_fma_f16 v5, 0x34f2, v2, v5 op_sel_hi:[0,1,1]
	;; [unrolled: 1-line block ×4, first 2 shown]
	ds_store_2addr_b32 v102, v0, v7 offset1:1
	ds_store_2addr_b32 v102, v9, v3 offset0:2 offset1:3
	ds_store_b32 v102, v8 offset:16
	ds_store_2addr_b32 v103, v1, v10 offset1:1
	ds_store_2addr_b32 v103, v5, v2 offset0:2 offset1:3
	ds_store_b32 v103, v4 offset:16
	s_and_saveexec_b32 s0, vcc_lo
	s_cbranch_execz .LBB0_7
; %bb.6:
	v_lshl_add_u32 v0, v104, 2, v100
	v_bfi_b32 v1, 0xffff, v22, v42
	v_perm_b32 v2, v41, v42, 0x5040100
	ds_store_2addr_b32 v0, v16, v17 offset1:1
	ds_store_2addr_b32 v0, v1, v2 offset0:2 offset1:3
	ds_store_b32 v0, v30 offset:16
.LBB0_7:
	s_wait_alu 0xfffe
	s_or_b32 exec_lo, exec_lo, s0
	v_add_nc_u32_e32 v0, 0x600, v67
	v_add_nc_u32_e32 v1, 0x800, v67
	;; [unrolled: 1-line block ×5, first 2 shown]
	global_wb scope:SCOPE_SE
	s_wait_dscnt 0x0
	s_barrier_signal -1
	s_barrier_wait -1
	global_inv scope:SCOPE_SE
	ds_load_2addr_b32 v[20:21], v67 offset1:75
	ds_load_2addr_b32 v[18:19], v67 offset0:150 offset1:240
	ds_load_2addr_b32 v[34:35], v0 offset0:96 offset1:171
	;; [unrolled: 1-line block ×6, first 2 shown]
	ds_load_b32 v46, v67 offset:4440
	v_lshrrev_b32_e32 v45, 16, v17
	s_and_saveexec_b32 s0, vcc_lo
	s_cbranch_execz .LBB0_9
; %bb.8:
	v_add_nc_u32_e32 v0, 0x380, v67
	v_add_nc_u32_e32 v1, 0xb00, v67
	ds_load_2addr_b32 v[16:17], v0 offset0:1 offset1:241
	ds_load_2addr_b32 v[22:23], v1 offset0:1 offset1:241
	ds_load_b32 v30, v67 offset:4740
	s_wait_dscnt 0x2
	v_lshrrev_b32_e32 v45, 16, v17
	s_wait_dscnt 0x1
	v_lshrrev_b32_e32 v41, 16, v23
	v_bfi_b32 v42, 0xffff, v23, v22
.LBB0_9:
	s_wait_alu 0xfffe
	s_or_b32 exec_lo, exec_lo, s0
	v_and_b32_e32 v23, 0xff, v90
	v_and_b32_e32 v0, 0xff, v40
	;; [unrolled: 1-line block ×3, first 2 shown]
	s_wait_dscnt 0x6
	v_lshrrev_b32_e32 v50, 16, v19
	s_wait_dscnt 0x5
	v_lshrrev_b32_e32 v51, 16, v34
	v_mul_lo_u16 v1, 0xcd, v23
	v_mul_lo_u16 v0, 0xcd, v0
	s_wait_dscnt 0x4
	v_lshrrev_b32_e32 v52, 16, v25
	s_wait_dscnt 0x3
	v_lshrrev_b32_e32 v53, 16, v36
	s_wait_dscnt 0x2
	v_lshrrev_b32_e32 v54, 16, v28
	v_lshrrev_b16 v64, 10, v1
	v_mul_lo_u16 v1, 0xcd, v2
	v_lshrrev_b16 v65, 10, v0
	v_lshrrev_b32_e32 v55, 16, v35
	s_wait_dscnt 0x1
	v_lshrrev_b32_e32 v56, 16, v26
	v_mul_lo_u16 v0, v64, 5
	v_lshrrev_b16 v66, 10, v1
	v_mul_lo_u16 v1, v65, 5
	v_and_b32_e32 v64, 0xffff, v64
	v_and_b32_e32 v65, 0xffff, v65
	v_sub_nc_u16 v0, v90, v0
	v_mul_lo_u16 v2, v66, 5
	v_sub_nc_u16 v1, v40, v1
	v_and_b32_e32 v66, 0xffff, v66
	v_mul_u32_u24_e32 v64, 25, v64
	v_and_b32_e32 v60, 0xff, v0
	v_sub_nc_u16 v0, v39, v2
	v_and_b32_e32 v61, 0xff, v1
	v_and_b32_e32 v2, 0xffff, v38
	v_mul_u32_u24_e32 v65, 25, v65
	v_lshlrev_b32_e32 v1, 4, v60
	v_and_b32_e32 v63, 0xff, v0
	v_lshlrev_b32_e32 v0, 4, v61
	v_mul_u32_u24_e32 v66, 25, v66
	v_lshrrev_b32_e32 v57, 16, v37
	global_load_b128 v[12:15], v1, s[2:3]
	v_lshrrev_b32_e32 v49, 16, v29
	global_load_b128 v[8:11], v0, s[2:3]
	v_mul_u32_u24_e32 v1, 0xcccd, v2
	v_lshlrev_b32_e32 v2, 4, v63
	v_lshrrev_b32_e32 v48, 16, v24
	v_lshrrev_b32_e32 v47, 16, v27
	s_wait_dscnt 0x0
	v_lshrrev_b32_e32 v99, 16, v46
	v_lshrrev_b32_e32 v58, 18, v1
	global_load_b128 v[4:7], v2, s[2:3]
	v_add_nc_u32_e32 v64, v64, v60
	v_add_nc_u32_e32 v61, v65, v61
	;; [unrolled: 1-line block ×3, first 2 shown]
	v_mul_lo_u16 v0, v58, 5
	v_lshrrev_b32_e32 v109, 16, v42
	v_lshrrev_b32_e32 v116, 16, v30
	v_lshl_add_u32 v108, v64, 2, v100
	v_lshl_add_u32 v107, v61, 2, v100
	v_sub_nc_u16 v59, v38, v0
	v_lshl_add_u32 v106, v63, 2, v100
	v_lshrrev_b32_e32 v43, 16, v20
	v_lshrrev_b32_e32 v44, 16, v21
	v_lshrrev_b32_e32 v118, 16, v18
	v_lshlrev_b16 v0, 2, v59
	v_mad_u16 v105, v58, 25, v59
	v_lshrrev_b32_e32 v60, 16, v16
	s_delay_alu instid0(VALU_DEP_3) | instskip(NEXT) | instid1(VALU_DEP_1)
	v_and_b32_e32 v0, 0xffff, v0
	v_lshlrev_b32_e32 v0, 2, v0
	global_load_b128 v[0:3], v0, s[2:3]
	global_wb scope:SCOPE_SE
	s_wait_loadcnt 0x0
	s_barrier_signal -1
	s_barrier_wait -1
	global_inv scope:SCOPE_SE
	v_lshrrev_b32_e32 v131, 16, v12
	v_lshrrev_b32_e32 v129, 16, v13
	;; [unrolled: 1-line block ×8, first 2 shown]
	v_mul_f16_e64 v58, v50, v131
	v_lshrrev_b32_e32 v117, 16, v4
	v_lshrrev_b32_e32 v114, 16, v5
	;; [unrolled: 1-line block ×4, first 2 shown]
	v_mul_f16_e64 v59, v19, v131
	v_mul_f16_e64 v61, v51, v129
	;; [unrolled: 1-line block ×3, first 2 shown]
	v_mul_f16_e32 v64, v52, v127
	v_mul_f16_e32 v65, v25, v127
	;; [unrolled: 1-line block ×5, first 2 shown]
	v_mul_f16_e64 v128, v28, v123
	v_mul_f16_e64 v130, v55, v122
	;; [unrolled: 1-line block ×15, first 2 shown]
	v_fma_f16 v34, v34, v13, -v61
	v_fma_f16 v35, v35, v9, -v130
	v_lshrrev_b32_e32 v115, 16, v1
	v_lshrrev_b32_e32 v111, 16, v2
	;; [unrolled: 1-line block ×4, first 2 shown]
	v_fma_f16 v36, v36, v15, -v66
	v_fma_f16 v37, v37, v11, -v135
	v_fmac_f16_e32 v59, v50, v12
	v_fmac_f16_e32 v63, v51, v13
	;; [unrolled: 1-line block ×4, first 2 shown]
	v_fmac_f16_e64 v128, v54, v8
	v_fmac_f16_e64 v132, v55, v9
	;; [unrolled: 1-line block ×4, first 2 shown]
	v_fma_f16 v50, v19, v12, -v58
	v_fma_f16 v51, v25, v14, -v64
	;; [unrolled: 1-line block ×5, first 2 shown]
	v_fmac_f16_e64 v138, v49, v4
	v_fma_f16 v49, v24, v5, -v139
	v_fmac_f16_e64 v140, v48, v5
	v_fma_f16 v48, v27, v6, -v141
	;; [unrolled: 2-line block ×3, first 2 shown]
	v_mul_f16_e32 v26, v109, v115
	v_mul_f16_e32 v24, v22, v115
	;; [unrolled: 1-line block ×8, first 2 shown]
	v_fmac_f16_e64 v144, v99, v7
	v_fma_f16 v26, v22, v1, -v26
	v_fmac_f16_e32 v24, v109, v1
	v_fma_f16 v27, v42, v2, -v27
	v_fmac_f16_e32 v25, v41, v2
	;; [unrolled: 2-line block ×3, first 2 shown]
	v_sub_f16_e32 v30, v50, v34
	v_sub_f16_e32 v41, v36, v51
	;; [unrolled: 1-line block ×4, first 2 shown]
	v_add_f16_e32 v55, v43, v59
	v_add_f16_e32 v56, v63, v65
	v_sub_f16_e32 v57, v59, v63
	v_sub_f16_e32 v58, v124, v65
	v_add_f16_e32 v61, v59, v124
	v_add_f16_e32 v99, v35, v53
	v_sub_f16_e32 v109, v52, v35
	v_sub_f16_e32 v116, v37, v53
	v_add_f16_e32 v125, v52, v37
	v_sub_f16_e64 v130, v35, v52
	v_sub_f16_e64 v133, v53, v37
	v_add_f16_e64 v135, v21, v52
	v_add_f16_e64 v141, v132, v134
	;; [unrolled: 1-line block ×4, first 2 shown]
	v_sub_f16_e64 v146, v132, v128
	v_sub_f16_e64 v147, v134, v136
	;; [unrolled: 1-line block ×4, first 2 shown]
	v_add_f16_e64 v150, v49, v48
	v_add_f16_e64 v151, v29, v46
	;; [unrolled: 1-line block ×6, first 2 shown]
	v_fmac_f16_e32 v28, v45, v0
	v_fma_f16 v17, v17, v0, -v54
	v_add_f16_e32 v45, v50, v36
	v_sub_f16_e32 v64, v63, v59
	v_sub_f16_e32 v66, v65, v124
	v_sub_f16_e64 v137, v128, v132
	v_sub_f16_e64 v139, v136, v134
	v_sub_f16_e64 v153, v49, v29
	v_sub_f16_e64 v154, v48, v46
	v_sub_f16_e64 v155, v138, v140
	v_sub_f16_e64 v156, v144, v142
	v_add_f16_e64 v157, v140, v142
	v_add_f16_e64 v158, v138, v144
	v_sub_f16_e64 v160, v140, v138
	v_sub_f16_e64 v164, v34, v51
	;; [unrolled: 1-line block ×6, first 2 shown]
	v_sub_f16_e32 v50, v50, v36
	v_sub_f16_e32 v54, v59, v124
	v_add_f16_e32 v30, v30, v41
	v_add_f16_e32 v41, v42, v47
	;; [unrolled: 1-line block ×3, first 2 shown]
	v_fma_f16 v56, -0.5, v56, v43
	v_fmac_f16_e32 v43, -0.5, v61
	v_add_f16_e32 v58, v109, v116
	v_fma_f16 v61, -0.5, v99, v21
	v_fmac_f16_e32 v21, -0.5, v125
	v_add_f16_e64 v99, v130, v133
	v_fma_f16 v116, -0.5, v141, v44
	v_fmac_f16_e64 v44, -0.5, v143
	v_add_f16_e64 v125, v146, v147
	v_add_f16_e64 v130, v148, v149
	v_fma_f16 v133, -0.5, v150, v18
	v_fmac_f16_e64 v18, -0.5, v151
	v_add_f16_e64 v34, v162, v34
	v_add_f16_e32 v47, v55, v63
	v_add_f16_e64 v35, v135, v35
	v_add_f16_e64 v55, v145, v132
	;; [unrolled: 1-line block ×4, first 2 shown]
	v_sub_f16_e64 v140, v28, v24
	v_sub_f16_e64 v143, v19, v25
	v_fma_f16 v147, -0.5, v163, v20
	v_fma_f16 v20, -0.5, v45, v20
	v_add_f16_e32 v45, v26, v27
	v_add_f16_e64 v149, v17, v22
	v_add_f16_e64 v151, v24, v25
	;; [unrolled: 1-line block ×3, first 2 shown]
	v_sub_f16_e64 v167, v132, v134
	v_sub_f16_e64 v132, v26, v17
	v_sub_f16_e64 v135, v27, v22
	v_sub_f16_e64 v145, v24, v28
	v_sub_f16_e64 v146, v25, v19
	v_sub_f16_e32 v52, v52, v37
	v_sub_f16_e64 v59, v128, v136
	v_sub_f16_e64 v161, v142, v144
	v_sub_f16_e32 v29, v29, v46
	v_sub_f16_e64 v128, v138, v144
	v_add_f16_e32 v57, v64, v66
	v_add_f16_e64 v109, v137, v139
	v_add_f16_e64 v137, v153, v154
	;; [unrolled: 1-line block ×3, first 2 shown]
	v_fma_f16 v139, -0.5, v157, v118
	v_fmac_f16_e64 v118, -0.5, v158
	v_sub_f16_e32 v64, v17, v26
	v_sub_f16_e32 v66, v22, v27
	v_sub_f16_e64 v148, v28, v19
	v_sub_f16_e64 v150, v24, v25
	;; [unrolled: 1-line block ×4, first 2 shown]
	v_add_f16_e32 v34, v34, v51
	v_add_f16_e32 v51, v47, v65
	;; [unrolled: 1-line block ×3, first 2 shown]
	v_add_f16_e64 v53, v55, v134
	v_add_f16_e64 v134, v140, v143
	v_fma_f16 v140, 0x3b9c, v54, v147
	v_fma_f16 v143, 0xbb9c, v50, v56
	v_fma_f16 v155, -0.5, v45, v16
	v_fma_f16 v47, -0.5, v149, v16
	;; [unrolled: 1-line block ×4, first 2 shown]
	v_add_f16_e32 v48, v49, v48
	v_add_f16_e64 v49, v63, v142
	v_add_f16_e64 v132, v132, v135
	;; [unrolled: 1-line block ×3, first 2 shown]
	v_fma_f16 v142, 0xbb9c, v165, v20
	v_fmac_f16_e64 v20, 0x3b9c, v165
	v_fma_f16 v145, 0x3b9c, v164, v43
	v_fmac_f16_e64 v43, 0xbb9c, v164
	v_fmac_f16_e64 v147, 0xbb9c, v54
	v_fmac_f16_e32 v56, 0x3b9c, v50
	v_fma_f16 v146, 0x3b9c, v59, v61
	v_fma_f16 v159, 0xbb9c, v52, v116
	v_add_f16_e64 v141, v160, v161
	v_fma_f16 v158, 0xbb9c, v167, v21
	v_fmac_f16_e64 v21, 0x3b9c, v167
	v_fma_f16 v160, 0x3b9c, v166, v44
	v_fmac_f16_e64 v44, 0xbb9c, v166
	v_add_f16_e32 v55, v64, v66
	v_fmac_f16_e32 v61, 0xbb9c, v59
	v_fmac_f16_e32 v116, 0x3b9c, v52
	v_fma_f16 v161, 0x3b9c, v128, v133
	v_fmac_f16_e64 v133, 0xbb9c, v128
	v_fma_f16 v162, 0xbb9c, v169, v18
	v_fmac_f16_e64 v18, 0x3b9c, v169
	;; [unrolled: 2-line block ×4, first 2 shown]
	v_fmac_f16_e64 v140, 0x38b4, v165
	v_fmac_f16_e64 v143, 0xb8b4, v164
	v_fma_f16 v63, 0x3b9c, v148, v155
	v_fmac_f16_e64 v155, 0xbb9c, v148
	v_fma_f16 v64, 0xbb9c, v150, v47
	;; [unrolled: 2-line block ×4, first 2 shown]
	v_fmac_f16_e64 v154, 0xbb9c, v157
	v_fmac_f16_e64 v142, 0x38b4, v54
	v_fmac_f16_e32 v20, 0xb8b4, v54
	v_fmac_f16_e64 v145, 0xb8b4, v50
	v_fmac_f16_e32 v43, 0x38b4, v50
	v_fmac_f16_e64 v147, 0xb8b4, v165
	v_fmac_f16_e64 v56, 0x38b4, v164
	;; [unrolled: 1-line block ×5, first 2 shown]
	v_fmac_f16_e32 v21, 0xb8b4, v59
	v_fmac_f16_e64 v160, 0xb8b4, v52
	v_fmac_f16_e32 v44, 0x38b4, v52
	v_add_f16_e32 v34, v34, v36
	v_add_f16_e32 v36, v51, v124
	;; [unrolled: 1-line block ×3, first 2 shown]
	v_fmac_f16_e64 v61, 0xb8b4, v167
	v_add_f16_e64 v37, v53, v136
	v_fmac_f16_e64 v116, 0x38b4, v166
	v_fmac_f16_e64 v161, 0x38b4, v169
	;; [unrolled: 1-line block ×8, first 2 shown]
	v_fmac_f16_e32 v118, 0x38b4, v29
	v_fmac_f16_e64 v140, 0x34f2, v30
	v_fmac_f16_e64 v143, 0x34f2, v42
	;; [unrolled: 1-line block ×11, first 2 shown]
	v_fmac_f16_e32 v20, 0x34f2, v41
	v_fmac_f16_e64 v145, 0x34f2, v57
	v_fmac_f16_e32 v43, 0x34f2, v57
	v_fmac_f16_e64 v147, 0x34f2, v30
	;; [unrolled: 2-line block ×3, first 2 shown]
	v_fmac_f16_e64 v159, 0x34f2, v109
	v_fmac_f16_e64 v158, 0x34f2, v99
	v_fmac_f16_e32 v21, 0x34f2, v99
	v_fmac_f16_e64 v160, 0x34f2, v125
	v_fmac_f16_e32 v44, 0x34f2, v125
	v_add_f16_e32 v45, v48, v46
	v_add_f16_e64 v46, v49, v144
	v_fmac_f16_e32 v61, 0x34f2, v58
	v_fmac_f16_e32 v116, 0x34f2, v109
	v_fmac_f16_e64 v161, 0x34f2, v130
	v_fmac_f16_e64 v133, 0x34f2, v130
	;; [unrolled: 1-line block ×8, first 2 shown]
	v_pack_b32_f16 v29, v34, v36
	v_pack_b32_f16 v30, v35, v37
	v_fmac_f16_e32 v63, 0x34f2, v55
	v_fmac_f16_e64 v155, 0x34f2, v55
	v_fmac_f16_e64 v64, 0x34f2, v132
	;; [unrolled: 1-line block ×7, first 2 shown]
	v_pack_b32_f16 v35, v140, v143
	v_pack_b32_f16 v36, v142, v145
	;; [unrolled: 1-line block ×13, first 2 shown]
	ds_store_2addr_b32 v108, v29, v35 offset1:5
	ds_store_2addr_b32 v108, v36, v20 offset0:10 offset1:15
	ds_store_b32 v108, v37 offset:80
	ds_store_2addr_b32 v107, v30, v41 offset1:5
	ds_store_2addr_b32 v107, v42, v21 offset0:10 offset1:15
	ds_store_b32 v107, v43 offset:80
	;; [unrolled: 3-line block ×3, first 2 shown]
	s_and_saveexec_b32 s0, vcc_lo
	s_cbranch_execz .LBB0_11
; %bb.10:
	v_add_f16_e32 v18, v60, v28
	v_add_f16_e32 v16, v16, v17
	v_perm_b32 v20, v66, v64, 0x5040100
	v_perm_b32 v21, v154, v47, 0x5040100
	s_delay_alu instid0(VALU_DEP_4) | instskip(NEXT) | instid1(VALU_DEP_4)
	v_add_f16_e32 v17, v18, v24
	v_add_f16_e32 v16, v16, v26
	v_and_b32_e32 v18, 0xffff, v105
	s_delay_alu instid0(VALU_DEP_3) | instskip(NEXT) | instid1(VALU_DEP_3)
	v_add_f16_e32 v17, v17, v25
	v_add_f16_e32 v16, v16, v27
	s_delay_alu instid0(VALU_DEP_3) | instskip(NEXT) | instid1(VALU_DEP_3)
	v_lshl_add_u32 v18, v18, 2, v100
	v_add_f16_e32 v17, v17, v19
	s_delay_alu instid0(VALU_DEP_3) | instskip(SKIP_1) | instid1(VALU_DEP_2)
	v_add_f16_e32 v16, v16, v22
	v_perm_b32 v19, v65, v63, 0x5040100
	v_pack_b32_f16 v16, v16, v17
	v_perm_b32 v17, v153, v155, 0x5040100
	ds_store_2addr_b32 v18, v20, v21 offset0:10 offset1:15
	ds_store_2addr_b32 v18, v16, v19 offset1:5
	ds_store_b32 v18, v17 offset:80
.LBB0_11:
	s_wait_alu 0xfffe
	s_or_b32 exec_lo, exec_lo, s0
	v_mul_lo_u16 v16, v23, 41
	global_wb scope:SCOPE_SE
	s_wait_dscnt 0x0
	s_barrier_signal -1
	s_barrier_wait -1
	global_inv scope:SCOPE_SE
	v_lshrrev_b16 v56, 10, v16
	v_add_nc_u32_e32 v35, 0x400, v67
	v_add_nc_u32_e32 v36, 0x600, v67
	;; [unrolled: 1-line block ×4, first 2 shown]
	v_mul_lo_u16 v16, v56, 25
	v_add_nc_u32_e32 v57, 0x1000, v67
	v_add_nc_u32_e32 v37, 0xc00, v67
	v_and_b32_e32 v59, 0xffff, v56
	v_add_nc_u32_e32 v99, 0xe00, v67
	v_sub_nc_u16 v16, v90, v16
	v_cmp_gt_u16_e64 s0, 25, v90
	s_delay_alu instid0(VALU_DEP_4) | instskip(NEXT) | instid1(VALU_DEP_3)
	v_mul_u32_u24_e32 v59, 0x190, v59
	v_and_b32_e32 v58, 0xff, v16
	s_delay_alu instid0(VALU_DEP_1) | instskip(NEXT) | instid1(VALU_DEP_3)
	v_mad_co_u64_u32 v[28:29], null, v58, 60, s[2:3]
	v_add_nc_u32_e32 v58, v59, v58
	s_clause 0x3
	global_load_b128 v[24:27], v[28:29], off offset:80
	global_load_b128 v[20:23], v[28:29], off offset:96
	;; [unrolled: 1-line block ×3, first 2 shown]
	global_load_b96 v[28:30], v[28:29], off offset:128
	ds_load_2addr_b32 v[41:42], v67 offset1:75
	ds_load_2addr_b32 v[43:44], v67 offset0:150 offset1:225
	ds_load_2addr_b32 v[45:46], v35 offset0:44 offset1:119
	;; [unrolled: 1-line block ×7, first 2 shown]
	v_lshl_add_u32 v109, v58, 2, v100
	global_wb scope:SCOPE_SE
	s_wait_loadcnt_dscnt 0x0
	s_barrier_signal -1
	s_barrier_wait -1
	global_inv scope:SCOPE_SE
	v_add_nc_u32_e32 v58, 0x200, v109
	v_add_nc_u32_e32 v157, 0x400, v109
	v_lshrrev_b32_e32 v61, 16, v42
	v_lshrrev_b32_e32 v116, 16, v43
	v_lshrrev_b32_e32 v118, 16, v44
	v_lshrrev_b32_e32 v143, 16, v45
	v_lshrrev_b32_e32 v144, 16, v46
	v_lshrrev_b32_e32 v145, 16, v48
	v_lshrrev_b32_e32 v146, 16, v49
	v_lshrrev_b32_e32 v147, 16, v50
	v_lshrrev_b32_e32 v148, 16, v51
	v_lshrrev_b32_e32 v149, 16, v52
	v_lshrrev_b32_e32 v150, 16, v53
	v_lshrrev_b32_e32 v59, 16, v54
	v_lshrrev_b32_e32 v151, 16, v55
	v_lshrrev_b32_e32 v152, 16, v56
	v_lshrrev_b32_e32 v156, 16, v57
	v_lshrrev_b32_e32 v60, 16, v41
	v_lshrrev_b32_e32 v142, 16, v24
	v_lshrrev_b32_e32 v141, 16, v25
	v_lshrrev_b32_e32 v140, 16, v26
	v_lshrrev_b32_e32 v139, 16, v27
	v_lshrrev_b32_e32 v138, 16, v20
	v_lshrrev_b32_e32 v137, 16, v21
	v_lshrrev_b32_e32 v136, 16, v22
	v_lshrrev_b32_e32 v135, 16, v23
	v_lshrrev_b32_e32 v134, 16, v16
	v_lshrrev_b32_e32 v133, 16, v17
	v_lshrrev_b32_e32 v132, 16, v18
	v_lshrrev_b32_e32 v130, 16, v19
	v_lshrrev_b32_e32 v128, 16, v28
	v_lshrrev_b32_e32 v125, 16, v29
	v_lshrrev_b32_e32 v124, 16, v30
	v_mul_f16_e64 v158, v61, v142
	v_mul_f16_e64 v159, v42, v142
	;; [unrolled: 1-line block ×30, first 2 shown]
	v_fma_f16 v42, v42, v24, -v158
	v_fmac_f16_e64 v159, v61, v24
	v_fma_f16 v43, v43, v25, -v160
	v_fmac_f16_e64 v161, v116, v25
	;; [unrolled: 2-line block ×15, first 2 shown]
	v_sub_f16_e32 v50, v41, v50
	v_sub_f16_e64 v59, v60, v173
	v_sub_f16_e32 v54, v45, v54
	v_sub_f16_e64 v61, v165, v181
	;; [unrolled: 2-line block ×8, first 2 shown]
	v_fma_f16 v60, v60, 2.0, -v59
	v_fma_f16 v45, v45, 2.0, -v54
	;; [unrolled: 1-line block ×12, first 2 shown]
	v_sub_f16_e32 v61, v50, v61
	v_add_f16_e32 v54, v59, v54
	v_sub_f16_e32 v118, v52, v118
	v_add_f16_e32 v56, v116, v56
	v_sub_f16_e64 v144, v51, v144
	v_add_f16_e64 v55, v143, v55
	v_sub_f16_e64 v146, v53, v146
	v_add_f16_e64 v57, v145, v57
	v_fma_f16 v41, v41, 2.0, -v50
	v_fma_f16 v43, v43, 2.0, -v52
	;; [unrolled: 1-line block ×4, first 2 shown]
	v_sub_f16_e64 v147, v60, v147
	v_fma_f16 v50, v50, 2.0, -v61
	v_fma_f16 v59, v59, 2.0, -v54
	v_sub_f16_e64 v149, v148, v149
	v_fma_f16 v52, v52, 2.0, -v118
	v_fma_f16 v116, v116, 2.0, -v56
	;; [unrolled: 3-line block ×4, first 2 shown]
	v_fma_f16 v158, 0x39a8, v118, v61
	v_fma_f16 v159, 0x39a8, v56, v54
	v_sub_f16_e32 v45, v41, v45
	v_sub_f16_e32 v48, v43, v48
	v_sub_f16_e32 v46, v42, v46
	v_sub_f16_e32 v49, v44, v49
	v_fma_f16 v160, 0x39a8, v146, v144
	v_fma_f16 v161, 0x39a8, v57, v55
	v_fma_f16 v60, v60, 2.0, -v147
	v_fma_f16 v148, v148, 2.0, -v149
	;; [unrolled: 1-line block ×4, first 2 shown]
	v_fma_f16 v162, 0xb9a8, v52, v50
	v_fma_f16 v163, 0xb9a8, v116, v59
	v_fmac_f16_e64 v158, 0xb9a8, v56
	v_fmac_f16_e64 v159, 0x39a8, v118
	v_fmamk_f16 v56, v53, 0xb9a8, v51
	v_fma_f16 v118, 0xb9a8, v145, v143
	v_fma_f16 v43, v43, 2.0, -v48
	v_fma_f16 v44, v44, 2.0, -v49
	v_sub_f16_e64 v149, v45, v149
	v_add_f16_e64 v48, v147, v48
	v_sub_f16_e64 v164, v46, v156
	v_add_f16_e64 v49, v151, v49
	v_fmac_f16_e64 v160, 0xb9a8, v57
	v_fmac_f16_e64 v161, 0x39a8, v146
	v_fma_f16 v41, v41, 2.0, -v45
	v_fma_f16 v42, v42, 2.0, -v46
	v_sub_f16_e64 v57, v60, v148
	v_fmac_f16_e64 v162, 0xb9a8, v116
	v_fmac_f16_e64 v163, 0x39a8, v52
	v_sub_f16_e64 v116, v150, v152
	v_fmac_f16_e64 v56, 0xb9a8, v145
	v_fmac_f16_e32 v118, 0x39a8, v53
	v_fma_f16 v45, v45, 2.0, -v149
	v_fma_f16 v52, v147, 2.0, -v48
	;; [unrolled: 1-line block ×8, first 2 shown]
	v_sub_f16_e32 v43, v41, v43
	v_sub_f16_e32 v44, v42, v44
	v_fma_f16 v146, 0x39a8, v164, v149
	v_fma_f16 v147, 0x39a8, v49, v48
	;; [unrolled: 1-line block ×4, first 2 shown]
	v_fma_f16 v60, v60, 2.0, -v57
	v_fma_f16 v50, v50, 2.0, -v162
	;; [unrolled: 1-line block ×6, first 2 shown]
	v_fma_f16 v150, 0xb9a8, v53, v45
	v_fma_f16 v151, 0xb9a8, v145, v52
	v_fma_f16 v152, 0xb61f, v144, v61
	v_fma_f16 v165, 0xb61f, v55, v54
	v_fma_f16 v166, 0x361f, v56, v162
	v_fma_f16 v167, 0x361f, v118, v163
	v_fma_f16 v42, v42, 2.0, -v44
	v_sub_f16_e32 v116, v43, v116
	v_add_f16_e32 v44, v57, v44
	v_fmac_f16_e64 v146, 0xb9a8, v49
	v_fmac_f16_e64 v147, 0x39a8, v164
	;; [unrolled: 1-line block ×4, first 2 shown]
	v_fma_f16 v41, v41, 2.0, -v43
	v_sub_f16_e64 v49, v60, v148
	v_fma_f16 v148, 0xbb64, v51, v50
	v_fma_f16 v160, 0xbb64, v143, v59
	v_fmac_f16_e64 v150, 0xb9a8, v145
	v_fmac_f16_e64 v151, 0x39a8, v53
	;; [unrolled: 1-line block ×6, first 2 shown]
	v_fma_f16 v43, v43, 2.0, -v116
	v_fma_f16 v53, v57, 2.0, -v44
	;; [unrolled: 1-line block ×6, first 2 shown]
	v_sub_f16_e32 v42, v41, v42
	v_fmac_f16_e64 v148, 0xb61f, v143
	v_fmac_f16_e64 v160, 0x361f, v51
	v_fma_f16 v45, v45, 2.0, -v150
	v_fma_f16 v51, v52, 2.0, -v151
	;; [unrolled: 1-line block ×6, first 2 shown]
	v_pack_b32_f16 v43, v43, v53
	v_pack_b32_f16 v48, v55, v48
	;; [unrolled: 1-line block ×3, first 2 shown]
	v_fma_f16 v41, v41, 2.0, -v42
	v_fma_f16 v60, v60, 2.0, -v49
	v_pack_b32_f16 v42, v42, v49
	v_pack_b32_f16 v49, v150, v151
	;; [unrolled: 1-line block ×3, first 2 shown]
	v_fma_f16 v50, v50, 2.0, -v148
	v_fma_f16 v57, v59, 2.0, -v160
	v_pack_b32_f16 v44, v116, v44
	v_pack_b32_f16 v116, v146, v147
	;; [unrolled: 1-line block ×7, first 2 shown]
	ds_store_2addr_b32 v109, v48, v53 offset0:150 offset1:175
	v_pack_b32_f16 v48, v148, v160
	v_pack_b32_f16 v41, v41, v60
	ds_store_2addr_b32 v58, v49, v55 offset0:122 offset1:147
	v_pack_b32_f16 v49, v50, v57
	ds_store_2addr_b32 v157, v116, v118 offset0:94 offset1:119
	ds_store_2addr_b32 v157, v44, v56 offset0:44 offset1:69
	;; [unrolled: 1-line block ×5, first 2 shown]
	ds_store_2addr_b32 v109, v41, v49 offset1:25
	global_wb scope:SCOPE_SE
	s_wait_dscnt 0x0
	s_barrier_signal -1
	s_barrier_wait -1
	global_inv scope:SCOPE_SE
	ds_load_2addr_b32 v[52:53], v67 offset1:75
	ds_load_2addr_b32 v[48:49], v35 offset0:44 offset1:144
	ds_load_2addr_b32 v[60:61], v37 offset0:32 offset1:107
	;; [unrolled: 1-line block ×6, first 2 shown]
	ds_load_b32 v116, v67 offset:4400
	s_and_saveexec_b32 s1, s0
	s_cbranch_execz .LBB0_13
; %bb.12:
	ds_load_b32 v46, v67 offset:1500
	ds_load_b32 v63, v67 offset:3100
	;; [unrolled: 1-line block ×3, first 2 shown]
	s_wait_dscnt 0x2
	v_lshrrev_b32_e32 v156, 16, v46
	s_wait_dscnt 0x1
	v_lshrrev_b32_e32 v65, 16, v63
	;; [unrolled: 2-line block ×3, first 2 shown]
.LBB0_13:
	s_wait_alu 0xfffe
	s_or_b32 exec_lo, exec_lo, s1
	v_lshlrev_b32_e32 v34, 3, v90
	v_lshlrev_b32_e32 v35, 3, v40
	;; [unrolled: 1-line block ×4, first 2 shown]
	s_wait_dscnt 0x5
	v_lshrrev_b32_e32 v158, 16, v60
	global_load_b64 v[42:43], v34, s[2:3] offset:1580
	v_add_nc_u32_e32 v34, 0x960, v34
	s_clause 0x2
	global_load_b64 v[44:45], v35, s[2:3] offset:1580
	global_load_b64 v[40:41], v36, s[2:3] offset:1580
	;; [unrolled: 1-line block ×3, first 2 shown]
	s_wait_dscnt 0x4
	v_lshrrev_b32_e32 v163, 16, v59
	s_wait_dscnt 0x2
	v_lshrrev_b32_e32 v164, 16, v56
	v_lshrrev_b32_e32 v160, 16, v58
	global_load_b64 v[38:39], v34, s[2:3] offset:1580
	v_add_co_u32 v34, s1, 0x177, v90
	s_wait_alu 0xf1ff
	v_add_co_ci_u32_e64 v35, null, 0, 0, s1
	v_add_co_u32 v99, s1, 0xffffffe7, v90
	s_wait_alu 0xf1ff
	v_add_co_ci_u32_e64 v118, null, 0, -1, s1
	v_lshrrev_b32_e32 v161, 16, v61
	s_delay_alu instid0(VALU_DEP_3)
	v_cndmask_b32_e64 v34, v99, v34, s0
	s_wait_dscnt 0x1
	v_lshrrev_b32_e32 v169, 16, v55
	v_cndmask_b32_e64 v35, v118, v35, s0
	v_lshrrev_b32_e32 v118, 16, v49
	s_wait_dscnt 0x0
	v_lshrrev_b32_e32 v170, 16, v116
	v_lshrrev_b32_e32 v157, 16, v52
	;; [unrolled: 1-line block ×3, first 2 shown]
	v_lshlrev_b64_e32 v[34:35], 3, v[34:35]
	v_lshrrev_b32_e32 v166, 16, v54
	v_lshrrev_b32_e32 v167, 16, v57
	;; [unrolled: 1-line block ×5, first 2 shown]
	v_add_co_u32 v34, s1, s2, v34
	s_wait_alu 0xf1ff
	v_add_co_ci_u32_e64 v35, s1, s3, v35, s1
	v_lshl_add_u32 v99, v90, 2, v100
	global_load_b64 v[34:35], v[34:35], off offset:1580
	s_wait_loadcnt 0x4
	v_lshrrev_b32_e32 v150, 16, v44
	v_lshrrev_b32_e32 v152, 16, v42
	;; [unrolled: 1-line block ×4, first 2 shown]
	s_wait_loadcnt 0x3
	v_lshrrev_b32_e32 v148, 16, v40
	v_lshrrev_b32_e32 v147, 16, v41
	s_wait_loadcnt 0x2
	v_lshrrev_b32_e32 v145, 16, v36
	v_lshrrev_b32_e32 v143, 16, v37
	v_mul_f16_e64 v171, v118, v152
	v_mul_f16_e64 v172, v49, v152
	;; [unrolled: 1-line block ×8, first 2 shown]
	s_wait_loadcnt 0x1
	v_lshrrev_b32_e32 v146, 16, v38
	v_lshrrev_b32_e32 v144, 16, v39
	v_mul_f16_e64 v175, v160, v150
	v_mul_f16_e64 v177, v161, v149
	;; [unrolled: 1-line block ×6, first 2 shown]
	v_fma_f16 v49, v49, v42, -v171
	v_fmac_f16_e64 v172, v118, v42
	v_fma_f16 v60, v60, v43, -v173
	v_fmac_f16_e64 v174, v158, v43
	v_fmac_f16_e64 v176, v160, v44
	;; [unrolled: 1-line block ×3, first 2 shown]
	v_fma_f16 v59, v59, v40, -v179
	v_fma_f16 v56, v56, v41, -v181
	v_mul_f16_e64 v118, v169, v146
	v_mul_f16_e64 v158, v55, v146
	;; [unrolled: 1-line block ×5, first 2 shown]
	v_fma_f16 v58, v58, v44, -v175
	v_fma_f16 v61, v61, v45, -v177
	v_fmac_f16_e64 v182, v164, v41
	v_fmac_f16_e64 v184, v166, v36
	v_mul_f16_e64 v161, v116, v144
	v_fmac_f16_e64 v186, v167, v37
	v_fma_f16 v55, v55, v38, -v118
	v_fmac_f16_e64 v158, v169, v38
	v_fma_f16 v160, v116, v39, -v160
	v_add_f16_e64 v164, v49, v60
	v_sub_f16_e64 v166, v172, v174
	v_add_f16_e64 v167, v157, v172
	v_add_f16_e64 v169, v172, v174
	v_sub_f16_e64 v172, v176, v178
	v_add_f16_e64 v173, v159, v176
	v_add_f16_e64 v175, v176, v178
	;; [unrolled: 1-line block ×4, first 2 shown]
	s_wait_loadcnt 0x0
	v_lshrrev_b32_e32 v118, 16, v34
	v_lshrrev_b32_e32 v116, 16, v35
	v_fmac_f16_e64 v180, v163, v40
	v_fma_f16 v54, v54, v36, -v183
	v_fma_f16 v57, v57, v37, -v185
	v_fmac_f16_e64 v161, v170, v39
	v_add_f16_e64 v163, v52, v49
	v_add_f16_e64 v170, v53, v58
	;; [unrolled: 1-line block ×3, first 2 shown]
	v_sub_f16_e32 v59, v59, v56
	v_sub_f16_e64 v187, v184, v186
	v_add_f16_e64 v188, v165, v184
	v_add_f16_e64 v184, v184, v186
	v_fma_f16 v52, -0.5, v164, v52
	v_add_f16_e64 v164, v173, v178
	v_fmac_f16_e64 v159, -0.5, v175
	v_add_f16_e64 v56, v176, v56
	v_fma_f16 v50, -0.5, v177, v50
	v_mul_f16_e64 v175, v65, v118
	v_mul_f16_e64 v176, v63, v118
	;; [unrolled: 1-line block ×4, first 2 shown]
	v_sub_f16_e32 v49, v49, v60
	v_sub_f16_e32 v58, v58, v61
	v_sub_f16_e64 v179, v180, v182
	v_add_f16_e64 v181, v162, v180
	v_add_f16_e64 v180, v180, v182
	;; [unrolled: 1-line block ×4, first 2 shown]
	v_sub_f16_e32 v54, v54, v57
	v_add_f16_e64 v60, v163, v60
	v_add_f16_e64 v163, v167, v174
	v_fmac_f16_e64 v157, -0.5, v169
	v_add_f16_e64 v61, v170, v61
	v_fmac_f16_e64 v53, -0.5, v171
	v_fmac_f16_e64 v165, -0.5, v184
	v_add_f16_e64 v170, v48, v55
	v_add_f16_e64 v171, v55, v160
	v_sub_f16_e64 v173, v158, v161
	v_add_f16_e64 v174, v168, v158
	v_add_f16_e64 v158, v158, v161
	v_fma_f16 v63, v63, v34, -v175
	v_fmac_f16_e64 v176, v65, v34
	v_fma_f16 v64, v64, v35, -v177
	v_fmac_f16_e64 v178, v66, v35
	v_add_f16_e64 v167, v181, v182
	v_fmac_f16_e64 v162, -0.5, v180
	v_fmac_f16_e64 v51, -0.5, v185
	v_sub_f16_e64 v55, v55, v160
	v_fma_f16 v180, 0x3aee, v166, v52
	v_fmac_f16_e64 v52, 0xbaee, v166
	v_fma_f16 v166, 0xbaee, v49, v157
	v_fmac_f16_e64 v157, 0x3aee, v49
	;; [unrolled: 2-line block ×5, first 2 shown]
	v_add_f16_e64 v54, v170, v160
	v_fmac_f16_e64 v48, -0.5, v171
	v_add_f16_e64 v160, v174, v161
	v_fmac_f16_e64 v168, -0.5, v158
	v_add_f16_e64 v158, v63, v64
	v_add_f16_e64 v161, v176, v178
	;; [unrolled: 1-line block ×4, first 2 shown]
	v_fma_f16 v58, 0x3aee, v179, v50
	v_fmac_f16_e64 v50, 0xbaee, v179
	v_fma_f16 v179, 0xbaee, v59, v162
	v_fmac_f16_e64 v162, 0x3aee, v59
	v_fma_f16 v59, 0x3aee, v187, v51
	v_fma_f16 v65, 0x3aee, v173, v48
	v_fmac_f16_e64 v48, 0xbaee, v173
	v_fma_f16 v66, 0xbaee, v55, v168
	v_fmac_f16_e64 v168, 0x3aee, v55
	v_pack_b32_f16 v55, v180, v166
	v_pack_b32_f16 v52, v52, v157
	;; [unrolled: 1-line block ×4, first 2 shown]
	v_add_f16_e64 v157, v46, v63
	v_sub_f16_e64 v159, v176, v178
	v_add_f16_e64 v160, v156, v176
	v_sub_f16_e32 v63, v63, v64
	v_fmac_f16_e64 v46, -0.5, v158
	v_fmac_f16_e64 v156, -0.5, v161
	v_fmac_f16_e64 v51, 0xbaee, v187
	v_pack_b32_f16 v60, v60, v163
	v_pack_b32_f16 v61, v61, v164
	;; [unrolled: 1-line block ×8, first 2 shown]
	ds_store_b32 v99, v55 offset:1600
	ds_store_b32 v99, v52 offset:3200
	ds_store_2addr_b32 v67, v60, v61 offset1:75
	ds_store_b32 v99, v49 offset:1900
	ds_store_b32 v99, v53 offset:3500
	;; [unrolled: 1-line block ×6, first 2 shown]
	v_pack_b32_f16 v52, v48, v168
	v_add_f16_e64 v48, v157, v64
	v_add_f16_e64 v157, v160, v178
	v_fma_f16 v49, 0x3aee, v159, v46
	v_fmac_f16_e64 v46, 0xbaee, v159
	v_fma_f16 v158, 0xbaee, v63, v156
	v_fmac_f16_e64 v156, 0x3aee, v63
	v_pack_b32_f16 v51, v51, v165
	v_pack_b32_f16 v50, v65, v66
	ds_store_b32 v67, v59 offset:2500
	ds_store_b32 v67, v51 offset:4100
	;; [unrolled: 1-line block ×5, first 2 shown]
	s_and_saveexec_b32 s1, s0
	s_cbranch_execz .LBB0_15
; %bb.14:
	v_perm_b32 v50, v157, v48, 0x5040100
	v_perm_b32 v51, v158, v49, 0x5040100
	;; [unrolled: 1-line block ×3, first 2 shown]
	ds_store_b32 v99, v50 offset:1500
	ds_store_b32 v99, v51 offset:3100
	;; [unrolled: 1-line block ×3, first 2 shown]
.LBB0_15:
	s_wait_alu 0xfffe
	s_or_b32 exec_lo, exec_lo, s1
	s_add_nc_u64 s[2:3], s[16:17], 0x12c0
	global_wb scope:SCOPE_SE
	s_wait_dscnt 0x0
	s_barrier_signal -1
	s_barrier_wait -1
	global_inv scope:SCOPE_SE
	s_clause 0xe
	global_load_b32 v61, v[31:32], off offset:4800
	global_load_b32 v163, v62, s[2:3] offset:960
	global_load_b32 v164, v62, s[2:3] offset:1920
	global_load_b32 v165, v62, s[2:3] offset:2880
	global_load_b32 v166, v62, s[2:3] offset:3840
	global_load_b32 v167, v62, s[2:3] offset:300
	global_load_b32 v168, v62, s[2:3] offset:1260
	global_load_b32 v169, v62, s[2:3] offset:2220
	global_load_b32 v170, v62, s[2:3] offset:3180
	global_load_b32 v171, v62, s[2:3] offset:4140
	global_load_b32 v172, v62, s[2:3] offset:600
	global_load_b32 v173, v62, s[2:3] offset:1560
	global_load_b32 v174, v62, s[2:3] offset:2520
	global_load_b32 v175, v62, s[2:3] offset:3480
	global_load_b32 v176, v62, s[2:3] offset:4440
	v_add_nc_u32_e32 v51, 0x600, v67
	ds_load_2addr_b32 v[55:56], v67 offset1:75
	ds_load_2addr_b32 v[57:58], v67 offset0:150 offset1:240
	v_add_nc_u32_e32 v52, 0x800, v67
	v_add_nc_u32_e32 v54, 0xe00, v67
	;; [unrolled: 1-line block ×4, first 2 shown]
	ds_load_b32 v177, v67 offset:4440
	ds_load_2addr_b32 v[59:60], v51 offset0:96 offset1:171
	ds_load_2addr_b32 v[63:64], v52 offset0:118 offset1:208
	;; [unrolled: 1-line block ×5, first 2 shown]
	s_wait_dscnt 0x7
	v_lshrrev_b32_e32 v178, 16, v55
	v_lshrrev_b32_e32 v180, 16, v56
	s_wait_dscnt 0x4
	v_lshrrev_b32_e32 v183, 16, v59
	v_lshrrev_b32_e32 v187, 16, v60
	s_wait_dscnt 0x3
	v_lshrrev_b32_e32 v184, 16, v64
	s_wait_dscnt 0x2
	v_lshrrev_b32_e32 v185, 16, v65
	v_lshrrev_b32_e32 v189, 16, v66
	;; [unrolled: 1-line block ×4, first 2 shown]
	s_wait_dscnt 0x1
	v_lshrrev_b32_e32 v186, 16, v159
	v_lshrrev_b32_e32 v190, 16, v160
	;; [unrolled: 1-line block ×3, first 2 shown]
	s_wait_dscnt 0x0
	v_lshrrev_b32_e32 v188, 16, v161
	v_lshrrev_b32_e32 v191, 16, v63
	;; [unrolled: 1-line block ×3, first 2 shown]
	s_wait_loadcnt 0xe
	v_lshrrev_b32_e32 v193, 16, v61
	s_wait_loadcnt 0xd
	v_lshrrev_b32_e32 v194, 16, v163
	;; [unrolled: 2-line block ×15, first 2 shown]
	v_mul_f16_e64 v208, v178, v193
	v_mul_f16_e64 v193, v55, v193
	;; [unrolled: 1-line block ×30, first 2 shown]
	v_fma_f16 v55, v55, v61, -v208
	v_fmac_f16_e64 v193, v178, v61
	v_fma_f16 v56, v56, v167, -v213
	v_fmac_f16_e64 v198, v180, v167
	;; [unrolled: 2-line block ×4, first 2 shown]
	v_fma_f16 v61, v64, v165, -v211
	v_fma_f16 v64, v65, v166, -v212
	v_fmac_f16_e64 v197, v185, v166
	v_fma_f16 v66, v66, v171, -v217
	v_fmac_f16_e64 v202, v189, v171
	v_fma_f16 v58, v58, v163, -v209
	v_fmac_f16_e64 v194, v179, v163
	v_fma_f16 v57, v57, v172, -v218
	v_fmac_f16_e64 v203, v181, v172
	v_fma_f16 v65, v159, v168, -v214
	v_fmac_f16_e64 v199, v186, v168
	v_fma_f16 v160, v160, v173, -v219
	v_fmac_f16_e64 v204, v190, v173
	v_fmac_f16_e64 v196, v184, v165
	v_fma_f16 v159, v161, v170, -v216
	v_fmac_f16_e64 v201, v188, v170
	v_fma_f16 v63, v63, v174, -v220
	;; [unrolled: 2-line block ×4, first 2 shown]
	v_fmac_f16_e64 v207, v182, v176
	v_pack_b32_f16 v55, v55, v193
	v_pack_b32_f16 v56, v56, v198
	;; [unrolled: 1-line block ×15, first 2 shown]
	ds_store_2addr_b32 v67, v55, v56 offset1:75
	ds_store_2addr_b32 v51, v59, v60 offset0:96 offset1:171
	ds_store_2addr_b32 v54, v64, v66 offset0:64 offset1:139
	;; [unrolled: 1-line block ×6, first 2 shown]
	ds_store_b32 v67, v162 offset:4440
	s_and_saveexec_b32 s1, vcc_lo
	s_cbranch_execz .LBB0_17
; %bb.16:
	s_wait_alu 0xfffe
	v_add_co_u32 v55, s2, s2, v62
	s_wait_alu 0xf1ff
	v_add_co_ci_u32_e64 v56, null, s3, 0, s2
	v_add_nc_u32_e32 v64, 0xec0, v67
	s_clause 0x4
	global_load_b32 v57, v[55:56], off offset:900
	global_load_b32 v59, v[55:56], off offset:1860
	global_load_b32 v60, v[55:56], off offset:2820
	global_load_b32 v61, v[55:56], off offset:3780
	global_load_b32 v62, v[55:56], off offset:4740
	ds_load_b32 v55, v99 offset:900
	s_wait_dscnt 0x0
	v_lshrrev_b32_e32 v56, 16, v55
	s_wait_loadcnt 0x4
	v_lshrrev_b32_e32 v58, 16, v57
	s_wait_loadcnt 0x3
	;; [unrolled: 2-line block ×5, first 2 shown]
	v_lshrrev_b32_e32 v160, 16, v62
	v_mul_f16_e32 v63, v56, v58
	v_mul_f16_e32 v58, v55, v58
	s_delay_alu instid0(VALU_DEP_2) | instskip(NEXT) | instid1(VALU_DEP_2)
	v_fma_f16 v55, v55, v57, -v63
	v_fmac_f16_e32 v58, v56, v57
	v_add_nc_u32_e32 v63, 0x740, v67
	s_delay_alu instid0(VALU_DEP_2)
	v_pack_b32_f16 v55, v55, v58
	ds_store_b32 v99, v55 offset:900
	ds_load_2addr_b32 v[55:56], v63 offset0:1 offset1:241
	ds_load_2addr_b32 v[57:58], v64 offset0:1 offset1:241
	s_wait_dscnt 0x1
	v_lshrrev_b32_e32 v161, 16, v55
	v_lshrrev_b32_e32 v163, 16, v56
	s_wait_dscnt 0x0
	v_lshrrev_b32_e32 v165, 16, v57
	v_lshrrev_b32_e32 v167, 16, v58
	v_mul_f16_e64 v162, v55, v65
	v_mul_f16_e64 v164, v56, v66
	;; [unrolled: 1-line block ×8, first 2 shown]
	v_fmac_f16_e64 v162, v161, v59
	v_fmac_f16_e64 v164, v163, v60
	v_fma_f16 v55, v55, v59, -v65
	v_fma_f16 v56, v56, v60, -v66
	v_fmac_f16_e64 v166, v165, v61
	v_fmac_f16_e64 v168, v167, v62
	v_fma_f16 v57, v57, v61, -v159
	v_fma_f16 v58, v58, v62, -v160
	v_pack_b32_f16 v55, v55, v162
	v_pack_b32_f16 v56, v56, v164
	s_delay_alu instid0(VALU_DEP_4) | instskip(NEXT) | instid1(VALU_DEP_4)
	v_pack_b32_f16 v57, v57, v166
	v_pack_b32_f16 v58, v58, v168
	ds_store_2addr_b32 v63, v55, v56 offset0:1 offset1:241
	ds_store_2addr_b32 v64, v57, v58 offset0:1 offset1:241
.LBB0_17:
	s_wait_alu 0xfffe
	s_or_b32 exec_lo, exec_lo, s1
	global_wb scope:SCOPE_SE
	s_wait_dscnt 0x0
	s_barrier_signal -1
	s_barrier_wait -1
	global_inv scope:SCOPE_SE
	ds_load_2addr_b32 v[65:66], v67 offset1:75
	ds_load_2addr_b32 v[59:60], v67 offset0:150 offset1:240
	ds_load_2addr_b32 v[63:64], v51 offset0:96 offset1:171
	;; [unrolled: 1-line block ×6, first 2 shown]
	ds_load_b32 v162, v67 offset:4440
	s_and_saveexec_b32 s1, vcc_lo
	s_cbranch_execz .LBB0_19
; %bb.18:
	v_add_nc_u32_e32 v46, 0x380, v99
	v_add_nc_u32_e32 v47, 0xb00, v99
	ds_load_2addr_b32 v[48:49], v46 offset0:1 offset1:241
	ds_load_2addr_b32 v[46:47], v47 offset0:1 offset1:241
	ds_load_b32 v155, v99 offset:4740
	s_wait_dscnt 0x2
	v_lshrrev_b32_e32 v157, 16, v48
	v_lshrrev_b32_e32 v158, 16, v49
	s_wait_dscnt 0x1
	v_lshrrev_b32_e32 v156, 16, v46
	v_lshrrev_b32_e32 v154, 16, v47
	s_wait_dscnt 0x0
	v_lshrrev_b32_e32 v153, 16, v155
.LBB0_19:
	s_wait_alu 0xfffe
	s_or_b32 exec_lo, exec_lo, s1
	v_add_f16_e32 v50, v46, v47
	v_add_f16_e32 v51, v49, v48
	v_sub_f16_e64 v161, v158, v153
	v_sub_f16_e64 v160, v156, v154
	;; [unrolled: 1-line block ×3, first 2 shown]
	v_fma_f16 v159, -0.5, v50, v48
	v_sub_f16_e32 v50, v49, v46
	v_add_f16_e64 v165, v46, v51
	v_add_f16_e64 v166, v49, v155
	v_sub_f16_e64 v167, v46, v49
	v_fma_f16 v51, 0xbb9c, v161, v159
	v_fmac_f16_e64 v159, 0x3b9c, v161
	v_add_f16_e32 v54, v50, v54
	v_fmac_f16_e64 v48, -0.5, v166
	v_add_f16_e64 v166, v156, v154
	v_fmac_f16_e64 v51, 0xb8b4, v160
	v_fmac_f16_e64 v159, 0x38b4, v160
	v_sub_f16_e64 v168, v47, v155
	v_add_f16_e64 v169, v158, v157
	v_add_f16_e64 v50, v47, v165
	v_fmac_f16_e32 v51, 0x34f2, v54
	v_fmac_f16_e64 v159, 0x34f2, v54
	v_fma_f16 v54, 0x3b9c, v160, v48
	v_fmac_f16_e64 v48, 0xbb9c, v160
	v_fma_f16 v160, -0.5, v166, v157
	v_add_f16_e64 v166, v167, v168
	v_add_f16_e64 v167, v158, v153
	v_sub_f16_e64 v49, v49, v155
	v_fmac_f16_e64 v54, 0xb8b4, v161
	v_fmac_f16_e64 v48, 0x38b4, v161
	v_add_f16_e64 v161, v156, v169
	v_sub_f16_e32 v46, v46, v47
	v_fmac_f16_e64 v157, -0.5, v167
	v_add_f16_e64 v50, v155, v50
	v_fma_f16 v155, 0x3b9c, v49, v160
	v_fmac_f16_e64 v54, 0x34f2, v166
	v_fmac_f16_e64 v48, 0x34f2, v166
	v_add_f16_e64 v47, v154, v161
	v_sub_f16_e64 v166, v158, v156
	v_sub_f16_e64 v167, v153, v154
	v_fmac_f16_e64 v160, 0xbb9c, v49
	v_fma_f16 v161, 0xbb9c, v46, v157
	v_sub_f16_e64 v156, v156, v158
	v_sub_f16_e64 v154, v154, v153
	v_fmac_f16_e64 v157, 0x3b9c, v46
	v_fmac_f16_e64 v155, 0x38b4, v46
	v_fmac_f16_e64 v160, 0xb8b4, v46
	v_fmac_f16_e64 v161, 0x38b4, v49
	v_add_f16_e64 v46, v156, v154
	v_fmac_f16_e64 v157, 0xb8b4, v49
	v_add_f16_e64 v49, v153, v47
	s_wait_dscnt 0x3
	v_pk_add_f16 v47, v60, v61 neg_lo:[0,1] neg_hi:[0,1]
	v_pk_add_f16 v163, v65, v60
	v_fmac_f16_e64 v161, 0x34f2, v46
	v_fmac_f16_e64 v157, 0x34f2, v46
	v_pk_add_f16 v46, v63, v56
	v_add_f16_e64 v158, v166, v167
	v_pk_add_f16 v153, v63, v56 neg_lo:[0,1] neg_hi:[0,1]
	v_pk_mul_f16 v154, 0x3b9c, v47 op_sel_hi:[0,1]
	v_pk_add_f16 v156, v60, v61
	v_pk_fma_f16 v46, v46, 0.5, v65 op_sel_hi:[1,0,1] neg_lo:[1,0,0] neg_hi:[1,0,0]
	v_fmac_f16_e64 v155, 0x34f2, v158
	v_fmac_f16_e64 v160, 0x34f2, v158
	v_pk_add_f16 v158, v163, v63
	v_pk_mul_f16 v163, 0x38b4, v153 op_sel_hi:[0,1]
	v_pk_add_f16 v167, v46, v154 op_sel:[0,1] op_sel_hi:[1,0] neg_lo:[0,1] neg_hi:[0,1]
	v_pk_fma_f16 v65, v156, 0.5, v65 op_sel_hi:[1,0,1] neg_lo:[1,0,0] neg_hi:[1,0,0]
	v_pk_mul_f16 v153, 0x3b9c, v153 op_sel_hi:[0,1]
	v_pk_add_f16 v46, v46, v154 op_sel:[0,1] op_sel_hi:[1,0]
	v_pk_mul_f16 v47, 0x38b4, v47 op_sel_hi:[0,1]
	v_pk_add_f16 v154, v167, v163 op_sel:[0,1] op_sel_hi:[1,0] neg_lo:[0,1] neg_hi:[0,1]
	v_pk_add_f16 v166, v60, v63 neg_lo:[0,1] neg_hi:[0,1]
	v_pk_add_f16 v167, v65, v153 op_sel:[0,1] op_sel_hi:[1,0]
	v_pk_add_f16 v65, v65, v153 op_sel:[0,1] op_sel_hi:[1,0] neg_lo:[0,1] neg_hi:[0,1]
	v_pk_add_f16 v60, v63, v60 neg_lo:[0,1] neg_hi:[0,1]
	v_pk_add_f16 v63, v56, v61 neg_lo:[0,1] neg_hi:[0,1]
	;; [unrolled: 1-line block ×3, first 2 shown]
	v_pk_add_f16 v153, v167, v47 op_sel:[0,1] op_sel_hi:[1,0] neg_lo:[0,1] neg_hi:[0,1]
	v_pk_add_f16 v47, v65, v47 op_sel:[0,1] op_sel_hi:[1,0]
	v_pk_add_f16 v46, v46, v163 op_sel:[0,1] op_sel_hi:[1,0]
	v_pk_add_f16 v60, v60, v63
	v_pk_add_f16 v56, v158, v56
	;; [unrolled: 1-line block ×3, first 2 shown]
	v_bfi_b32 v63, 0xffff, v153, v47
	v_bfi_b32 v47, 0xffff, v47, v153
	v_bfi_b32 v156, 0xffff, v154, v46
	v_bfi_b32 v46, 0xffff, v46, v154
	s_wait_dscnt 0x2
	v_pk_add_f16 v153, v57, v62 neg_lo:[0,1] neg_hi:[0,1]
	v_pk_fma_f16 v63, 0x34f2, v60, v63 op_sel_hi:[0,1,1]
	v_pk_fma_f16 v47, 0x34f2, v60, v47 op_sel_hi:[0,1,1]
	s_wait_dscnt 0x1
	v_pk_add_f16 v60, v64, v52
	v_pk_add_f16 v56, v56, v61
	v_pk_fma_f16 v61, 0x34f2, v65, v156 op_sel_hi:[0,1,1]
	v_pk_add_f16 v156, v64, v52 neg_lo:[0,1] neg_hi:[0,1]
	v_pk_fma_f16 v46, 0x34f2, v65, v46 op_sel_hi:[0,1,1]
	v_pk_fma_f16 v60, v60, 0.5, v66 op_sel_hi:[1,0,1] neg_lo:[1,0,0] neg_hi:[1,0,0]
	v_pk_mul_f16 v65, 0x3b9c, v153 op_sel_hi:[0,1]
	v_pk_add_f16 v163, v57, v62
	v_pk_add_f16 v164, v66, v57
	v_pk_mul_f16 v158, 0x38b4, v156 op_sel_hi:[0,1]
	v_pk_mul_f16 v156, 0x3b9c, v156 op_sel_hi:[0,1]
	v_pk_add_f16 v166, v60, v65 op_sel:[0,1] op_sel_hi:[1,0] neg_lo:[0,1] neg_hi:[0,1]
	v_pk_add_f16 v60, v60, v65 op_sel:[0,1] op_sel_hi:[1,0]
	v_pk_fma_f16 v66, v163, 0.5, v66 op_sel_hi:[1,0,1] neg_lo:[1,0,0] neg_hi:[1,0,0]
	v_pk_add_f16 v154, v164, v64
	v_pk_mul_f16 v153, 0x38b4, v153 op_sel_hi:[0,1]
	v_pk_add_f16 v163, v166, v158 op_sel:[0,1] op_sel_hi:[1,0] neg_lo:[0,1] neg_hi:[0,1]
	v_pk_add_f16 v60, v60, v158 op_sel:[0,1] op_sel_hi:[1,0]
	v_pk_add_f16 v158, v66, v156 op_sel:[0,1] op_sel_hi:[1,0]
	v_pk_add_f16 v66, v66, v156 op_sel:[0,1] op_sel_hi:[1,0] neg_lo:[0,1] neg_hi:[0,1]
	v_pk_add_f16 v154, v154, v52
	v_pk_add_f16 v164, v57, v64 neg_lo:[0,1] neg_hi:[0,1]
	v_pk_add_f16 v65, v62, v52 neg_lo:[0,1] neg_hi:[0,1]
	;; [unrolled: 1-line block ×4, first 2 shown]
	v_pk_add_f16 v64, v158, v153 op_sel:[0,1] op_sel_hi:[1,0] neg_lo:[0,1] neg_hi:[0,1]
	v_pk_add_f16 v66, v66, v153 op_sel:[0,1] op_sel_hi:[1,0]
	global_wb scope:SCOPE_SE
	s_wait_dscnt 0x0
	s_barrier_signal -1
	s_barrier_wait -1
	global_inv scope:SCOPE_SE
	v_pk_add_f16 v65, v164, v65
	v_bfi_b32 v156, 0xffff, v163, v60
	ds_store_2addr_b32 v101, v56, v61 offset1:1
	ds_store_2addr_b32 v101, v63, v47 offset0:2 offset1:3
	ds_store_b32 v101, v46 offset:16
	v_pk_add_f16 v46, v57, v52
	v_bfi_b32 v47, 0xffff, v64, v66
	v_pk_add_f16 v52, v154, v62
	v_bfi_b32 v57, 0xffff, v66, v64
	v_bfi_b32 v60, 0xffff, v60, v163
	v_pk_add_f16 v61, v55, v53
	v_pk_add_f16 v62, v58, v162 neg_lo:[0,1] neg_hi:[0,1]
	v_pk_fma_f16 v47, 0x34f2, v46, v47 op_sel_hi:[0,1,1]
	v_pk_fma_f16 v46, 0x34f2, v46, v57 op_sel_hi:[0,1,1]
	;; [unrolled: 1-line block ×3, first 2 shown]
	v_pk_add_f16 v60, v55, v53 neg_lo:[0,1] neg_hi:[0,1]
	v_pk_fma_f16 v61, v61, 0.5, v59 op_sel_hi:[1,0,1] neg_lo:[1,0,0] neg_hi:[1,0,0]
	v_pk_mul_f16 v63, 0x3b9c, v62 op_sel_hi:[0,1]
	v_pk_add_f16 v64, v58, v162
	v_pk_add_f16 v165, v59, v58
	v_pk_mul_f16 v66, 0x38b4, v60 op_sel_hi:[0,1]
	v_pk_mul_f16 v60, 0x3b9c, v60 op_sel_hi:[0,1]
	v_pk_add_f16 v153, v61, v63 op_sel:[0,1] op_sel_hi:[1,0] neg_lo:[0,1] neg_hi:[0,1]
	v_pk_fma_f16 v59, v64, 0.5, v59 op_sel_hi:[1,0,1] neg_lo:[1,0,0] neg_hi:[1,0,0]
	v_pk_add_f16 v61, v61, v63 op_sel:[0,1] op_sel_hi:[1,0]
	v_pk_mul_f16 v62, 0x38b4, v62 op_sel_hi:[0,1]
	v_pk_fma_f16 v56, 0x34f2, v65, v156 op_sel_hi:[0,1,1]
	v_pk_add_f16 v63, v153, v66 op_sel:[0,1] op_sel_hi:[1,0] neg_lo:[0,1] neg_hi:[0,1]
	v_pk_add_f16 v153, v59, v60 op_sel:[0,1] op_sel_hi:[1,0]
	v_pk_add_f16 v59, v59, v60 op_sel:[0,1] op_sel_hi:[1,0] neg_lo:[0,1] neg_hi:[0,1]
	v_pk_add_f16 v65, v165, v55
	v_pk_add_f16 v101, v58, v55 neg_lo:[0,1] neg_hi:[0,1]
	v_pk_add_f16 v64, v162, v53 neg_lo:[0,1] neg_hi:[0,1]
	v_pk_add_f16 v60, v61, v66 op_sel:[0,1] op_sel_hi:[1,0]
	v_pk_add_f16 v55, v55, v58 neg_lo:[0,1] neg_hi:[0,1]
	v_pk_add_f16 v58, v53, v162 neg_lo:[0,1] neg_hi:[0,1]
	v_pk_add_f16 v61, v153, v62 op_sel:[0,1] op_sel_hi:[1,0] neg_lo:[0,1] neg_hi:[0,1]
	v_pk_add_f16 v59, v59, v62 op_sel:[0,1] op_sel_hi:[1,0]
	v_pk_add_f16 v53, v65, v53
	v_pk_add_f16 v62, v101, v64
	v_bfi_b32 v64, 0xffff, v63, v60
	v_pk_add_f16 v55, v55, v58
	v_bfi_b32 v58, 0xffff, v61, v59
	v_bfi_b32 v59, 0xffff, v59, v61
	;; [unrolled: 1-line block ×3, first 2 shown]
	v_pk_add_f16 v53, v53, v162
	v_pk_fma_f16 v61, 0x34f2, v62, v64 op_sel_hi:[0,1,1]
	v_pk_fma_f16 v58, 0x34f2, v55, v58 op_sel_hi:[0,1,1]
	;; [unrolled: 1-line block ×4, first 2 shown]
	ds_store_2addr_b32 v102, v52, v56 offset1:1
	ds_store_2addr_b32 v102, v47, v46 offset0:2 offset1:3
	ds_store_b32 v102, v57 offset:16
	ds_store_2addr_b32 v103, v53, v61 offset1:1
	ds_store_2addr_b32 v103, v58, v55 offset0:2 offset1:3
	ds_store_b32 v103, v59 offset:16
	s_and_saveexec_b32 s1, vcc_lo
	s_cbranch_execz .LBB0_21
; %bb.20:
	v_lshl_add_u32 v46, v104, 2, v100
	v_perm_b32 v47, v155, v51, 0x5040100
	v_perm_b32 v52, v49, v50, 0x5040100
	;; [unrolled: 1-line block ×5, first 2 shown]
	ds_store_2addr_b32 v46, v52, v47 offset1:1
	ds_store_2addr_b32 v46, v55, v53 offset0:2 offset1:3
	ds_store_b32 v46, v56 offset:16
.LBB0_21:
	s_wait_alu 0xfffe
	s_or_b32 exec_lo, exec_lo, s1
	v_add_nc_u32_e32 v55, 0x600, v67
	v_add_nc_u32_e32 v56, 0x800, v67
	;; [unrolled: 1-line block ×5, first 2 shown]
	global_wb scope:SCOPE_SE
	s_wait_dscnt 0x0
	s_barrier_signal -1
	s_barrier_wait -1
	global_inv scope:SCOPE_SE
	ds_load_2addr_b32 v[52:53], v67 offset1:75
	ds_load_2addr_b32 v[46:47], v67 offset0:150 offset1:240
	ds_load_2addr_b32 v[64:65], v55 offset0:96 offset1:171
	;; [unrolled: 1-line block ×6, first 2 shown]
	ds_load_b32 v102, v67 offset:4440
	s_and_saveexec_b32 s1, vcc_lo
	s_cbranch_execz .LBB0_23
; %bb.22:
	v_add_nc_u32_e32 v48, 0x380, v67
	v_add_nc_u32_e32 v49, 0xb00, v67
	ds_load_b32 v159, v67 offset:4740
	ds_load_2addr_b32 v[50:51], v48 offset0:1 offset1:241
	ds_load_2addr_b32 v[54:55], v49 offset0:1 offset1:241
	s_wait_dscnt 0x2
	v_lshrrev_b32_e32 v160, 16, v159
	s_wait_dscnt 0x1
	v_lshrrev_b32_e32 v49, 16, v50
	s_wait_dscnt 0x0
	v_mov_b32_e32 v48, v55
	v_lshrrev_b32_e32 v155, 16, v51
	v_lshrrev_b32_e32 v161, 16, v54
	;; [unrolled: 1-line block ×3, first 2 shown]
.LBB0_23:
	s_wait_alu 0xfffe
	s_or_b32 exec_lo, exec_lo, s1
	s_wait_dscnt 0x6
	v_lshrrev_b32_e32 v103, 16, v47
	s_wait_dscnt 0x5
	v_lshrrev_b32_e32 v104, 16, v64
	;; [unrolled: 2-line block ×5, first 2 shown]
	v_mul_f16_e64 v166, v131, v103
	v_mul_f16_e64 v131, v131, v47
	v_mul_f16_e64 v167, v129, v104
	v_lshrrev_b32_e32 v158, 16, v65
	s_wait_dscnt 0x1
	v_lshrrev_b32_e32 v162, 16, v58
	v_fmac_f16_e64 v166, v12, v47
	v_fma_f16 v12, v12, v103, -v131
	v_fmac_f16_e64 v167, v13, v64
	v_mul_f16_e64 v47, v129, v64
	v_mul_f16_e64 v64, v127, v153
	v_mul_f16_e32 v103, v127, v57
	v_mul_f16_e64 v127, v126, v154
	v_lshrrev_b32_e32 v163, 16, v63
	v_lshrrev_b32_e32 v164, 16, v61
	v_mul_f16_e32 v126, v126, v62
	v_fma_f16 v13, v13, v104, -v47
	v_fmac_f16_e32 v64, v14, v57
	v_fmac_f16_e32 v127, v15, v62
	v_mul_f16_e64 v47, v123, v156
	v_mul_f16_e32 v57, v123, v60
	v_mul_f16_e64 v62, v122, v158
	v_mul_f16_e64 v104, v121, v162
	v_lshrrev_b32_e32 v168, 16, v59
	v_fma_f16 v14, v14, v153, -v103
	v_mul_f16_e32 v103, v122, v65
	v_fmac_f16_e32 v47, v8, v60
	v_fma_f16 v8, v8, v156, -v57
	v_fmac_f16_e32 v62, v9, v65
	v_fmac_f16_e32 v104, v10, v58
	v_mul_f16_e32 v57, v121, v58
	v_mul_f16_e64 v58, v120, v163
	v_mul_f16_e64 v65, v117, v164
	v_lshrrev_b32_e32 v165, 16, v56
	s_wait_dscnt 0x0
	v_lshrrev_b32_e32 v169, 16, v102
	v_fma_f16 v9, v9, v158, -v103
	v_mul_f16_e32 v60, v120, v63
	v_mul_f16_e32 v103, v117, v61
	v_fmac_f16_e32 v58, v11, v63
	v_fmac_f16_e32 v65, v4, v61
	v_mul_f16_e64 v61, v113, v168
	v_mul_f16_e32 v63, v113, v59
	v_fma_f16 v10, v10, v162, -v57
	v_fma_f16 v11, v11, v163, -v60
	;; [unrolled: 1-line block ×3, first 2 shown]
	v_mul_f16_e64 v60, v114, v165
	v_mul_f16_e32 v4, v114, v56
	v_mul_f16_e64 v103, v112, v169
	v_fmac_f16_e32 v61, v6, v59
	v_fma_f16 v59, v6, v168, -v63
	v_mul_f16_e32 v6, v112, v102
	v_mul_f16_e32 v63, v119, v51
	v_fmac_f16_e32 v60, v5, v56
	v_fma_f16 v56, v5, v165, -v4
	v_fmac_f16_e32 v103, v7, v102
	v_mul_f16_e64 v5, v115, v161
	v_fma_f16 v112, v7, v169, -v6
	v_fma_f16 v6, v0, v155, -v63
	v_mul_f16_e64 v7, v111, v157
	v_add_f16_e64 v63, v52, v166
	v_mul_f16_e64 v4, v119, v155
	v_mul_f16_e32 v102, v115, v54
	v_fmac_f16_e32 v5, v1, v54
	v_mul_f16_e32 v54, v111, v48
	v_fmac_f16_e32 v7, v2, v48
	v_add_f16_e64 v48, v63, v167
	v_lshrrev_b32_e32 v101, 16, v52
	v_fma_f16 v15, v15, v154, -v126
	v_fmac_f16_e32 v4, v0, v51
	v_add_f16_e64 v51, v167, v64
	v_mul_f16_e64 v0, v110, v160
	v_sub_f16_e64 v111, v166, v167
	v_sub_f16_e32 v113, v127, v64
	v_add_f16_e64 v114, v166, v127
	v_mul_f16_e64 v110, v110, v159
	v_add_f16_e32 v48, v48, v64
	v_fma_f16 v1, v1, v161, -v102
	v_fma_f16 v102, -0.5, v51, v52
	v_sub_f16_e32 v51, v12, v15
	v_fma_f16 v2, v2, v157, -v54
	v_fmac_f16_e64 v0, v3, v159
	v_sub_f16_e32 v54, v13, v14
	v_add_f16_e32 v111, v111, v113
	v_fma_f16 v113, -0.5, v114, v52
	v_fma_f16 v3, v3, v160, -v110
	v_add_f16_e32 v110, v48, v127
	v_sub_f16_e64 v48, v167, v166
	v_sub_f16_e32 v52, v64, v127
	v_add_f16_e32 v115, v101, v12
	v_fmamk_f16 v63, v51, 0xbb9c, v102
	v_fmac_f16_e32 v102, 0x3b9c, v51
	v_fmamk_f16 v114, v54, 0x3b9c, v113
	v_add_f16_e32 v117, v13, v14
	v_add_f16_e32 v48, v48, v52
	v_fmac_f16_e32 v113, 0xbb9c, v54
	v_add_f16_e32 v52, v115, v13
	v_fmac_f16_e32 v63, 0xb8b4, v54
	v_fmac_f16_e32 v102, 0x38b4, v54
	;; [unrolled: 1-line block ×3, first 2 shown]
	v_fma_f16 v115, -0.5, v117, v101
	v_sub_f16_e64 v54, v166, v127
	v_fmac_f16_e32 v113, 0x38b4, v51
	v_add_f16_e32 v51, v52, v14
	v_add_f16_e32 v52, v12, v15
	v_sub_f16_e32 v117, v12, v13
	v_sub_f16_e32 v12, v13, v12
	;; [unrolled: 1-line block ×3, first 2 shown]
	v_fmac_f16_e32 v63, 0x34f2, v111
	v_fmac_f16_e32 v102, 0x34f2, v111
	v_fmamk_f16 v111, v54, 0x3b9c, v115
	v_sub_f16_e64 v64, v167, v64
	v_sub_f16_e32 v119, v15, v14
	v_fmac_f16_e32 v101, -0.5, v52
	v_fmac_f16_e32 v115, 0xbb9c, v54
	v_add_f16_e32 v14, v62, v104
	v_add_f16_e32 v12, v12, v13
	;; [unrolled: 1-line block ×3, first 2 shown]
	v_fmac_f16_e32 v114, 0x34f2, v48
	v_fmac_f16_e32 v113, 0x34f2, v48
	;; [unrolled: 1-line block ×3, first 2 shown]
	v_add_f16_e32 v48, v117, v119
	v_fmamk_f16 v117, v64, 0xbb9c, v101
	v_fmac_f16_e32 v115, 0xb8b4, v64
	v_fma_f16 v119, -0.5, v14, v53
	v_sub_f16_e32 v14, v8, v11
	v_fmac_f16_e32 v101, 0x3b9c, v64
	v_add_f16_e32 v13, v13, v62
	v_add_f16_e32 v52, v47, v58
	v_lshrrev_b32_e32 v66, 16, v53
	v_add_f16_e32 v120, v51, v15
	v_fmac_f16_e32 v111, 0x34f2, v48
	v_fmac_f16_e32 v117, 0x38b4, v54
	;; [unrolled: 1-line block ×3, first 2 shown]
	v_fmamk_f16 v64, v14, 0xbb9c, v119
	v_sub_f16_e32 v15, v9, v10
	v_sub_f16_e32 v48, v47, v62
	;; [unrolled: 1-line block ×3, first 2 shown]
	v_fmac_f16_e32 v101, 0xb8b4, v54
	v_add_f16_e32 v13, v13, v104
	v_fmac_f16_e32 v53, -0.5, v52
	v_fmac_f16_e32 v119, 0x3b9c, v14
	v_fmac_f16_e32 v117, 0x34f2, v12
	;; [unrolled: 1-line block ×3, first 2 shown]
	v_add_f16_e32 v48, v48, v51
	v_fmac_f16_e32 v101, 0x34f2, v12
	v_add_f16_e32 v121, v13, v58
	v_fmamk_f16 v122, v15, 0x3b9c, v53
	v_sub_f16_e32 v12, v62, v47
	v_sub_f16_e32 v13, v104, v58
	v_fmac_f16_e32 v119, 0x38b4, v15
	v_add_f16_e32 v51, v66, v8
	v_add_f16_e32 v52, v9, v10
	v_fmac_f16_e32 v53, 0xbb9c, v15
	v_fmac_f16_e32 v64, 0x34f2, v48
	;; [unrolled: 1-line block ×3, first 2 shown]
	v_add_f16_e32 v12, v12, v13
	v_add_f16_e32 v13, v51, v9
	v_fma_f16 v123, -0.5, v52, v66
	v_sub_f16_e32 v15, v47, v58
	v_fmac_f16_e32 v119, 0x34f2, v48
	v_fmac_f16_e32 v53, 0x38b4, v14
	v_add_f16_e32 v14, v8, v11
	v_sub_f16_e32 v48, v8, v9
	v_sub_f16_e32 v8, v9, v8
	;; [unrolled: 1-line block ×3, first 2 shown]
	v_add_f16_e32 v13, v13, v10
	v_fmamk_f16 v126, v15, 0x3b9c, v123
	v_sub_f16_e32 v47, v62, v104
	v_sub_f16_e32 v51, v11, v10
	v_fmac_f16_e32 v66, -0.5, v14
	v_fmac_f16_e32 v123, 0xbb9c, v15
	v_add_f16_e32 v10, v60, v61
	v_add_f16_e32 v8, v8, v9
	;; [unrolled: 1-line block ×3, first 2 shown]
	v_fmac_f16_e32 v122, 0x34f2, v12
	v_fmac_f16_e32 v53, 0x34f2, v12
	;; [unrolled: 1-line block ×3, first 2 shown]
	v_add_f16_e32 v12, v48, v51
	v_fmamk_f16 v104, v47, 0xbb9c, v66
	v_fmac_f16_e32 v123, 0xb8b4, v47
	v_fmac_f16_e32 v66, 0x3b9c, v47
	v_fma_f16 v127, -0.5, v10, v46
	v_sub_f16_e32 v10, v57, v112
	v_add_f16_e32 v9, v9, v60
	v_add_f16_e32 v14, v65, v103
	v_lshrrev_b32_e32 v55, 16, v46
	v_add_f16_e32 v62, v13, v11
	v_fmac_f16_e32 v126, 0x34f2, v12
	v_fmac_f16_e32 v104, 0x38b4, v15
	;; [unrolled: 1-line block ×4, first 2 shown]
	v_fma_f16 v129, 0xbb9c, v10, v127
	v_sub_f16_e32 v11, v56, v59
	v_sub_f16_e32 v12, v65, v60
	;; [unrolled: 1-line block ×3, first 2 shown]
	v_fmac_f16_e32 v127, 0x3b9c, v10
	v_add_f16_e32 v9, v9, v61
	v_fmac_f16_e32 v46, -0.5, v14
	v_fmac_f16_e32 v104, 0x34f2, v8
	v_fmac_f16_e64 v129, 0xb8b4, v11
	v_add_f16_e32 v12, v12, v13
	v_fmac_f16_e32 v127, 0x38b4, v11
	v_fmac_f16_e32 v66, 0x34f2, v8
	v_add_f16_e64 v131, v9, v103
	v_fma_f16 v153, 0x3b9c, v11, v46
	v_sub_f16_e32 v8, v60, v65
	v_sub_f16_e32 v9, v61, v103
	v_fmac_f16_e32 v46, 0xbb9c, v11
	v_add_f16_e32 v11, v55, v57
	v_fmac_f16_e64 v129, 0x34f2, v12
	v_fmac_f16_e32 v127, 0x34f2, v12
	v_add_f16_e32 v12, v56, v59
	v_fmac_f16_e64 v153, 0xb8b4, v10
	v_add_f16_e32 v8, v8, v9
	v_fmac_f16_e32 v46, 0x38b4, v10
	v_add_f16_e32 v9, v11, v56
	v_fma_f16 v154, -0.5, v12, v55
	v_sub_f16_e32 v12, v65, v103
	v_fmac_f16_e64 v153, 0x34f2, v8
	v_fmac_f16_e32 v46, 0x34f2, v8
	v_add_f16_e32 v8, v9, v59
	v_add_f16_e32 v9, v57, v112
	v_fma_f16 v65, 0x3b9c, v12, v154
	v_sub_f16_e32 v13, v60, v61
	v_sub_f16_e32 v10, v57, v56
	v_sub_f16_e32 v11, v112, v59
	v_fmac_f16_e32 v55, -0.5, v9
	v_fmac_f16_e64 v154, 0xbb9c, v12
	v_add_f16_e32 v60, v8, v112
	v_fmac_f16_e32 v65, 0x38b4, v13
	v_add_f16_e32 v8, v10, v11
	v_fmamk_f16 v61, v13, 0xbb9c, v55
	v_sub_f16_e32 v9, v56, v57
	v_sub_f16_e32 v10, v59, v112
	v_fmac_f16_e64 v154, 0xb8b4, v13
	v_fmac_f16_e32 v55, 0x3b9c, v13
	v_sub_f16_e32 v13, v4, v5
	v_sub_f16_e32 v47, v0, v7
	v_add_f16_e32 v11, v5, v7
	v_fmac_f16_e32 v61, 0x38b4, v12
	v_add_f16_e32 v59, v9, v10
	v_add_f16_e32 v9, v4, v0
	v_fmac_f16_e32 v55, 0xb8b4, v12
	v_add_f16_e32 v12, v1, v2
	v_add_f16_e32 v51, v13, v47
	;; [unrolled: 1-line block ×3, first 2 shown]
	v_fmac_f16_e32 v65, 0x34f2, v8
	v_fmac_f16_e64 v154, 0x34f2, v8
	v_fma_f16 v8, -0.5, v11, v50
	v_sub_f16_e32 v10, v6, v3
	v_sub_f16_e32 v11, v1, v2
	v_fma_f16 v9, -0.5, v9, v50
	v_fma_f16 v12, -0.5, v12, v49
	v_sub_f16_e32 v52, v4, v0
	v_sub_f16_e32 v54, v5, v7
	v_fma_f16 v13, -0.5, v13, v49
	v_fmamk_f16 v14, v10, 0xbb9c, v8
	v_fmamk_f16 v15, v11, 0x3b9c, v9
	v_sub_f16_e32 v56, v5, v4
	v_sub_f16_e32 v57, v7, v0
	v_fmamk_f16 v47, v52, 0x3b9c, v12
	v_sub_f16_e32 v103, v6, v1
	v_sub_f16_e32 v112, v3, v2
	v_fmamk_f16 v48, v54, 0xbb9c, v13
	v_sub_f16_e64 v155, v1, v6
	v_sub_f16_e64 v156, v2, v3
	v_fmac_f16_e32 v61, 0x34f2, v59
	v_fmac_f16_e32 v14, 0xb8b4, v11
	;; [unrolled: 1-line block ×3, first 2 shown]
	v_add_f16_e32 v58, v56, v57
	v_fmac_f16_e32 v47, 0x38b4, v54
	v_add_f16_e32 v57, v103, v112
	v_fmac_f16_e32 v48, 0x38b4, v52
	v_add_f16_e64 v56, v155, v156
	v_fmac_f16_e32 v55, 0x34f2, v59
	v_pack_b32_f16 v59, v110, v120
	v_pack_b32_f16 v63, v63, v111
	;; [unrolled: 1-line block ×7, first 2 shown]
	v_fmac_f16_e32 v14, 0x34f2, v51
	v_fmac_f16_e32 v15, 0x34f2, v58
	v_fmac_f16_e32 v47, 0x34f2, v57
	v_fmac_f16_e32 v48, 0x34f2, v56
	global_wb scope:SCOPE_SE
	s_barrier_signal -1
	s_barrier_wait -1
	global_inv scope:SCOPE_SE
	ds_store_2addr_b32 v108, v59, v63 offset1:5
	ds_store_2addr_b32 v108, v103, v101 offset0:10 offset1:15
	ds_store_b32 v108, v102 offset:80
	ds_store_2addr_b32 v107, v62, v64 offset1:5
	v_pack_b32_f16 v59, v122, v104
	v_pack_b32_f16 v53, v53, v66
	;; [unrolled: 1-line block ×8, first 2 shown]
	ds_store_2addr_b32 v107, v59, v53 offset0:10 offset1:15
	ds_store_b32 v107, v62 offset:80
	ds_store_2addr_b32 v106, v60, v63 offset1:5
	ds_store_2addr_b32 v106, v61, v46 offset0:10 offset1:15
	ds_store_b32 v106, v55 offset:80
	s_and_saveexec_b32 s1, vcc_lo
	s_cbranch_execz .LBB0_25
; %bb.24:
	v_add_f16_e32 v6, v6, v49
	v_add_f16_e32 v4, v4, v50
	v_mul_f16_e32 v53, 0x38b4, v11
	v_mul_f16_e32 v11, 0x3b9c, v11
	;; [unrolled: 1-line block ×3, first 2 shown]
	v_add_f16_e32 v1, v1, v6
	v_mul_f16_e32 v6, 0x3b9c, v52
	v_mul_f16_e32 v10, 0x38b4, v10
	;; [unrolled: 1-line block ×4, first 2 shown]
	v_add_f16_e32 v1, v2, v1
	v_add_f16_e32 v2, v5, v4
	v_mul_f16_e32 v4, 0x3b9c, v54
	v_mul_f16_e32 v5, 0x38b4, v52
	;; [unrolled: 1-line block ×3, first 2 shown]
	v_add_f16_e32 v1, v3, v1
	v_add_f16_e32 v2, v7, v2
	;; [unrolled: 1-line block ×3, first 2 shown]
	v_sub_f16_e32 v4, v12, v6
	v_sub_f16_e32 v6, v9, v11
	v_add_f16_e32 v7, v8, v46
	v_mul_f16_e32 v52, 0x34f2, v56
	v_add_f16_e32 v0, v0, v2
	v_sub_f16_e32 v2, v3, v5
	v_sub_f16_e32 v3, v4, v50
	v_add_f16_e32 v4, v10, v6
	v_mul_f16_e32 v55, 0x34f2, v57
	v_add_f16_e32 v5, v53, v7
	v_and_b32_e32 v6, 0xffff, v105
	v_add_f16_e32 v2, v52, v2
	v_add_f16_e32 v4, v51, v4
	;; [unrolled: 1-line block ×4, first 2 shown]
	v_lshl_add_u32 v6, v6, 2, v100
	v_pack_b32_f16 v0, v0, v1
	v_perm_b32 v1, v47, v14, 0x5040100
	v_perm_b32 v7, v48, v15, 0x5040100
	v_pack_b32_f16 v2, v4, v2
	v_pack_b32_f16 v3, v5, v3
	ds_store_2addr_b32 v6, v0, v1 offset1:5
	ds_store_2addr_b32 v6, v7, v2 offset0:10 offset1:15
	ds_store_b32 v6, v3 offset:80
.LBB0_25:
	s_wait_alu 0xfffe
	s_or_b32 exec_lo, exec_lo, s1
	global_wb scope:SCOPE_SE
	s_wait_dscnt 0x0
	s_barrier_signal -1
	s_barrier_wait -1
	global_inv scope:SCOPE_SE
	ds_load_2addr_b32 v[0:1], v67 offset1:75
	ds_load_2addr_b32 v[2:3], v67 offset0:150 offset1:225
	v_add_nc_u32_e32 v46, 0x400, v67
	v_add_nc_u32_e32 v51, 0x600, v67
	;; [unrolled: 1-line block ×5, first 2 shown]
	ds_load_2addr_b32 v[4:5], v46 offset0:44 offset1:119
	ds_load_2addr_b32 v[6:7], v51 offset0:66 offset1:141
	;; [unrolled: 1-line block ×4, first 2 shown]
	v_add_nc_u32_e32 v49, 0x1000, v67
	ds_load_2addr_b32 v[12:13], v53 offset0:132 offset1:207
	ds_load_2addr_b32 v[49:50], v49 offset0:26 offset1:101
	global_wb scope:SCOPE_SE
	s_wait_dscnt 0x0
	s_barrier_signal -1
	s_barrier_wait -1
	global_inv scope:SCOPE_SE
	v_lshrrev_b32_e32 v55, 16, v1
	v_lshrrev_b32_e32 v56, 16, v2
	;; [unrolled: 1-line block ×3, first 2 shown]
	v_mul_f16_e64 v104, v142, v1
	v_lshrrev_b32_e32 v54, 16, v0
	v_mul_f16_e64 v101, v142, v55
	v_mul_f16_e64 v105, v141, v56
	v_lshrrev_b32_e32 v58, 16, v4
	v_mul_f16_e64 v106, v140, v57
	v_lshrrev_b32_e32 v59, 16, v5
	v_fmac_f16_e32 v101, v24, v1
	v_mul_f16_e64 v1, v141, v2
	v_lshrrev_b32_e32 v60, 16, v6
	v_lshrrev_b32_e32 v61, 16, v7
	v_fmac_f16_e32 v105, v25, v2
	v_mul_f16_e64 v2, v140, v3
	v_fma_f16 v1, v25, v56, -v1
	v_fmac_f16_e32 v106, v26, v3
	v_mul_f16_e64 v3, v139, v58
	v_mul_f16_e64 v25, v139, v4
	v_lshrrev_b32_e32 v62, 16, v8
	v_fma_f16 v24, v24, v55, -v104
	v_fma_f16 v2, v26, v57, -v2
	v_mul_f16_e64 v26, v138, v59
	v_mul_f16_e64 v55, v138, v5
	v_fmac_f16_e32 v3, v27, v4
	v_fma_f16 v4, v27, v58, -v25
	v_mul_f16_e64 v25, v137, v60
	v_mul_f16_e64 v27, v136, v61
	v_lshrrev_b32_e32 v63, 16, v9
	v_lshrrev_b32_e32 v64, 16, v10
	v_fmac_f16_e32 v26, v20, v5
	v_fma_f16 v5, v20, v59, -v55
	v_mul_f16_e64 v20, v137, v6
	v_fmac_f16_e32 v25, v21, v6
	v_mul_f16_e64 v6, v136, v7
	v_mul_f16_e64 v55, v135, v62
	v_fmac_f16_e32 v27, v22, v7
	v_mul_f16_e64 v7, v135, v8
	v_lshrrev_b32_e32 v65, 16, v11
	v_fma_f16 v20, v21, v60, -v20
	v_fma_f16 v6, v22, v61, -v6
	v_fmac_f16_e32 v55, v23, v8
	v_mul_f16_e64 v8, v134, v63
	v_mul_f16_e64 v21, v134, v9
	v_fma_f16 v7, v23, v62, -v7
	v_mul_f16_e64 v22, v133, v64
	v_mul_f16_e64 v23, v133, v10
	v_lshrrev_b32_e32 v66, 16, v12
	v_lshrrev_b32_e32 v100, 16, v13
	v_fmac_f16_e32 v8, v16, v9
	v_fma_f16 v9, v16, v63, -v21
	v_mul_f16_e64 v16, v132, v65
	v_fmac_f16_e32 v22, v17, v10
	v_fma_f16 v10, v17, v64, -v23
	v_mul_f16_e64 v17, v132, v11
	v_lshrrev_b32_e32 v102, 16, v49
	v_mul_f16_e64 v21, v130, v66
	v_fmac_f16_e32 v16, v18, v11
	v_mul_f16_e64 v11, v130, v12
	v_mul_f16_e64 v23, v128, v100
	v_fma_f16 v17, v18, v65, -v17
	v_mul_f16_e32 v18, v125, v49
	v_fmac_f16_e32 v21, v19, v12
	v_mul_f16_e64 v12, v128, v13
	v_fma_f16 v11, v19, v66, -v11
	v_fmac_f16_e32 v23, v28, v13
	v_mul_f16_e32 v13, v125, v102
	v_fma_f16 v18, v29, v102, -v18
	v_lshrrev_b32_e32 v103, 16, v50
	v_sub_f16_e32 v11, v4, v11
	v_sub_f16_e32 v22, v105, v22
	v_fmac_f16_e32 v13, v29, v49
	v_sub_f16_e32 v29, v0, v55
	v_sub_f16_e32 v18, v20, v18
	v_fma_f16 v12, v28, v100, -v12
	v_mul_f16_e32 v19, v124, v103
	v_mul_f16_e32 v28, v124, v50
	v_sub_f16_e32 v7, v54, v7
	v_sub_f16_e32 v21, v3, v21
	v_sub_f16_e32 v10, v1, v10
	v_fma_f16 v4, v4, 2.0, -v11
	v_sub_f16_e32 v13, v25, v13
	v_fma_f16 v20, v20, 2.0, -v18
	v_add_f16_e32 v11, v29, v11
	v_add_f16_e32 v18, v22, v18
	v_fmac_f16_e32 v19, v30, v50
	v_fma_f16 v28, v30, v103, -v28
	v_fma_f16 v0, v0, 2.0, -v29
	v_fma_f16 v30, v54, 2.0, -v7
	;; [unrolled: 1-line block ×6, first 2 shown]
	v_sub_f16_e32 v21, v7, v21
	v_fma_f16 v29, v29, 2.0, -v11
	v_sub_f16_e32 v13, v10, v13
	v_fma_f16 v22, v22, 2.0, -v18
	v_sub_f16_e32 v8, v101, v8
	v_sub_f16_e32 v9, v24, v9
	;; [unrolled: 1-line block ×9, first 2 shown]
	v_fma_f16 v7, v7, 2.0, -v21
	v_sub_f16_e32 v20, v1, v20
	v_fma_f16 v10, v10, 2.0, -v13
	v_fmamk_f16 v55, v22, 0xb9a8, v29
	v_fma_f16 v50, v101, 2.0, -v8
	v_fma_f16 v24, v24, 2.0, -v9
	;; [unrolled: 1-line block ×10, first 2 shown]
	v_add_f16_e32 v12, v8, v12
	v_add_f16_e32 v28, v16, v28
	v_fmamk_f16 v56, v10, 0xb9a8, v7
	v_fmac_f16_e32 v55, 0x39a8, v10
	v_sub_f16_e32 v3, v0, v3
	v_sub_f16_e32 v25, v49, v25
	;; [unrolled: 1-line block ×7, first 2 shown]
	v_fma_f16 v8, v8, 2.0, -v12
	v_sub_f16_e32 v19, v17, v19
	v_fma_f16 v16, v16, 2.0, -v28
	v_sub_f16_e32 v1, v30, v1
	v_fmac_f16_e32 v56, 0xb9a8, v22
	v_fma_f16 v22, v29, 2.0, -v55
	v_fmamk_f16 v29, v18, 0x39a8, v11
	v_fma_f16 v0, v0, 2.0, -v3
	v_fma_f16 v49, v49, 2.0, -v25
	;; [unrolled: 1-line block ×9, first 2 shown]
	v_fmamk_f16 v30, v13, 0x39a8, v21
	v_fmac_f16_e32 v29, 0x39a8, v13
	v_fmamk_f16 v13, v16, 0xb9a8, v8
	v_sub_f16_e32 v49, v0, v49
	v_sub_f16_e32 v2, v24, v2
	v_fmac_f16_e32 v30, 0xb9a8, v18
	v_sub_f16_e32 v18, v50, v54
	v_fmamk_f16 v54, v10, 0xb9a8, v9
	v_fmac_f16_e32 v13, 0x39a8, v10
	v_fma_f16 v0, v0, 2.0, -v49
	v_add_f16_e32 v20, v3, v20
	v_fma_f16 v10, v21, 2.0, -v30
	v_fma_f16 v21, v50, 2.0, -v18
	v_fma_f16 v24, v24, 2.0, -v2
	v_fmac_f16_e32 v54, 0xb9a8, v16
	v_fma_f16 v8, v8, 2.0, -v13
	v_fmamk_f16 v50, v28, 0x39a8, v12
	v_add_f16_e32 v6, v26, v6
	v_fmamk_f16 v57, v19, 0x39a8, v23
	v_sub_f16_e32 v25, v4, v25
	v_fma_f16 v7, v7, 2.0, -v56
	v_fma_f16 v3, v3, 2.0, -v20
	v_sub_f16_e32 v27, v5, v27
	v_fma_f16 v9, v9, 2.0, -v54
	v_fmac_f16_e32 v50, 0x39a8, v19
	v_fma_f16 v16, v26, 2.0, -v6
	v_fmac_f16_e32 v57, 0xb9a8, v28
	v_sub_f16_e32 v19, v0, v21
	v_sub_f16_e32 v21, v17, v24
	v_fmamk_f16 v24, v8, 0xbb64, v22
	v_fma_f16 v4, v4, 2.0, -v25
	v_fma_f16 v11, v11, 2.0, -v29
	;; [unrolled: 1-line block ×5, first 2 shown]
	v_fmamk_f16 v26, v9, 0xbb64, v7
	v_fmac_f16_e32 v24, 0x361f, v9
	v_fmamk_f16 v9, v16, 0xb9a8, v3
	v_fmamk_f16 v58, v5, 0xb9a8, v4
	v_fma_f16 v28, v17, 2.0, -v21
	v_fmac_f16_e32 v26, 0xb61f, v8
	v_fmamk_f16 v8, v12, 0xb61f, v11
	v_fmac_f16_e32 v9, 0x39a8, v5
	v_fmamk_f16 v5, v23, 0xb61f, v10
	;; [unrolled: 2-line block ×4, first 2 shown]
	v_fmac_f16_e32 v5, 0xbb64, v12
	v_sub_f16_e32 v12, v1, v18
	v_fmamk_f16 v18, v13, 0x361f, v55
	v_fmamk_f16 v17, v57, 0x3b64, v30
	v_fmac_f16_e32 v23, 0xbb64, v13
	v_fmamk_f16 v13, v6, 0x39a8, v20
	v_add_f16_e32 v2, v49, v2
	v_fmac_f16_e32 v18, 0x3b64, v54
	v_fmamk_f16 v54, v27, 0x39a8, v25
	v_fma_f16 v0, v0, 2.0, -v19
	v_fma_f16 v22, v22, 2.0, -v24
	;; [unrolled: 1-line block ×3, first 2 shown]
	v_fmac_f16_e32 v13, 0x39a8, v27
	v_fmac_f16_e32 v54, 0xb9a8, v6
	;; [unrolled: 1-line block ×4, first 2 shown]
	v_fma_f16 v3, v3, 2.0, -v9
	v_fma_f16 v4, v4, 2.0, -v58
	;; [unrolled: 1-line block ×12, first 2 shown]
	v_pack_b32_f16 v0, v0, v28
	v_pack_b32_f16 v7, v22, v7
	;; [unrolled: 1-line block ×6, first 2 shown]
	ds_store_2addr_b32 v109, v0, v7 offset1:25
	ds_store_2addr_b32 v109, v3, v4 offset0:50 offset1:75
	ds_store_2addr_b32 v109, v1, v6 offset0:100 offset1:125
	v_pack_b32_f16 v0, v20, v25
	v_pack_b32_f16 v1, v27, v29
	;; [unrolled: 1-line block ×6, first 2 shown]
	v_add_nc_u32_e32 v7, 0x200, v109
	v_pack_b32_f16 v2, v2, v12
	v_pack_b32_f16 v8, v18, v23
	v_add_nc_u32_e32 v9, 0x400, v109
	v_pack_b32_f16 v10, v13, v54
	v_pack_b32_f16 v11, v16, v17
	ds_store_2addr_b32 v109, v0, v1 offset0:150 offset1:175
	ds_store_2addr_b32 v109, v3, v4 offset0:200 offset1:225
	;; [unrolled: 1-line block ×5, first 2 shown]
	v_add_nc_u32_e32 v6, 0xe00, v67
	global_wb scope:SCOPE_SE
	s_wait_dscnt 0x0
	s_barrier_signal -1
	s_barrier_wait -1
	global_inv scope:SCOPE_SE
	ds_load_2addr_b32 v[4:5], v67 offset1:75
	ds_load_2addr_b32 v[0:1], v46 offset0:44 offset1:144
	ds_load_2addr_b32 v[12:13], v53 offset0:32 offset1:107
	ds_load_2addr_b32 v[10:11], v51 offset0:91 offset1:166
	ds_load_2addr_b32 v[2:3], v67 offset0:150 offset1:225
	ds_load_2addr_b32 v[8:9], v6 offset0:54 offset1:129
	ds_load_2addr_b32 v[6:7], v52 offset0:113 offset1:188
	ds_load_b32 v21, v67 offset:4400
	v_add_nc_u32_e32 v20, 0x258, v67
	v_add_nc_u32_e32 v19, 0x384, v67
	;; [unrolled: 1-line block ×3, first 2 shown]
	s_and_saveexec_b32 s1, s0
	s_cbranch_execz .LBB0_27
; %bb.26:
	ds_load_b32 v16, v67 offset:1500
	ds_load_b32 v14, v67 offset:3100
	;; [unrolled: 1-line block ×3, first 2 shown]
	s_wait_dscnt 0x2
	v_lshrrev_b32_e32 v17, 16, v16
	s_wait_dscnt 0x1
	v_lshrrev_b32_e32 v47, 16, v14
	;; [unrolled: 2-line block ×3, first 2 shown]
.LBB0_27:
	s_wait_alu 0xfffe
	s_or_b32 exec_lo, exec_lo, s1
	s_wait_dscnt 0x6
	v_lshrrev_b32_e32 v23, 16, v1
	s_wait_dscnt 0x5
	v_lshrrev_b32_e32 v24, 16, v12
	;; [unrolled: 2-line block ×3, first 2 shown]
	v_mul_f16_e64 v54, v152, v1
	v_lshrrev_b32_e32 v27, 16, v13
	v_mul_f16_e64 v52, v152, v23
	v_mul_f16_e64 v56, v151, v24
	v_lshrrev_b32_e32 v29, 16, v11
	v_fma_f16 v23, v42, v23, -v54
	s_wait_dscnt 0x2
	v_lshrrev_b32_e32 v30, 16, v8
	v_fmac_f16_e32 v52, v42, v1
	v_mul_f16_e64 v1, v151, v12
	v_mul_f16_e64 v42, v150, v26
	v_fmac_f16_e32 v56, v43, v12
	v_mul_f16_e64 v12, v150, v10
	s_wait_dscnt 0x1
	v_lshrrev_b32_e32 v49, 16, v6
	v_fma_f16 v1, v43, v24, -v1
	v_mul_f16_e64 v24, v149, v27
	v_fmac_f16_e32 v42, v44, v10
	v_mul_f16_e64 v10, v149, v13
	v_fma_f16 v12, v44, v26, -v12
	v_mul_f16_e64 v26, v148, v29
	v_lshrrev_b32_e32 v50, 16, v9
	v_fmac_f16_e32 v24, v45, v13
	v_mul_f16_e64 v13, v148, v11
	v_fma_f16 v10, v45, v27, -v10
	v_mul_f16_e64 v27, v147, v30
	v_fmac_f16_e32 v26, v40, v11
	v_mul_f16_e64 v11, v147, v8
	v_lshrrev_b32_e32 v53, 16, v7
	v_fma_f16 v13, v40, v29, -v13
	v_mul_f16_e64 v29, v145, v49
	v_fmac_f16_e32 v27, v41, v8
	v_mul_f16_e64 v8, v145, v6
	v_fma_f16 v11, v41, v30, -v11
	v_mul_f16_e64 v30, v143, v50
	s_wait_dscnt 0x0
	v_lshrrev_b32_e32 v55, 16, v21
	v_fmac_f16_e32 v29, v36, v6
	v_mul_f16_e64 v6, v143, v9
	v_fma_f16 v8, v36, v49, -v8
	v_mul_f16_e64 v36, v146, v53
	v_fmac_f16_e32 v30, v37, v9
	v_mul_f16_e64 v9, v146, v7
	v_lshrrev_b32_e32 v22, 16, v4
	v_fma_f16 v6, v37, v50, -v6
	v_mul_f16_e64 v37, v144, v55
	v_fmac_f16_e32 v36, v38, v7
	v_mul_f16_e64 v7, v144, v21
	v_fma_f16 v9, v38, v53, -v9
	v_add_f16_e32 v38, v52, v56
	v_fmac_f16_e32 v37, v39, v21
	v_add_f16_e32 v21, v4, v52
	v_fma_f16 v7, v39, v55, -v7
	v_add_f16_e32 v39, v23, v1
	v_fma_f16 v4, -0.5, v38, v4
	v_sub_f16_e32 v38, v23, v1
	v_add_f16_e32 v23, v22, v23
	v_lshrrev_b32_e32 v25, 16, v5
	v_fmac_f16_e32 v22, -0.5, v39
	v_sub_f16_e32 v39, v52, v56
	v_fmamk_f16 v40, v38, 0xbaee, v4
	v_add_f16_e32 v1, v23, v1
	v_add_f16_e32 v23, v42, v24
	v_fmac_f16_e32 v4, 0x3aee, v38
	v_fmamk_f16 v38, v39, 0x3aee, v22
	v_add_f16_e32 v41, v5, v42
	v_fmac_f16_e32 v22, 0xbaee, v39
	v_add_f16_e32 v39, v12, v10
	v_fmac_f16_e32 v5, -0.5, v23
	v_sub_f16_e32 v23, v12, v10
	v_add_f16_e32 v12, v25, v12
	v_add_f16_e32 v41, v41, v24
	v_fmac_f16_e32 v25, -0.5, v39
	v_sub_f16_e32 v24, v42, v24
	v_lshrrev_b32_e32 v28, 16, v2
	v_add_f16_e32 v10, v12, v10
	v_add_f16_e32 v12, v26, v27
	v_fmamk_f16 v39, v23, 0xbaee, v5
	v_fmac_f16_e32 v5, 0x3aee, v23
	v_fmamk_f16 v23, v24, 0x3aee, v25
	v_add_f16_e32 v42, v2, v26
	v_fmac_f16_e32 v25, 0xbaee, v24
	v_add_f16_e32 v24, v13, v11
	v_fma_f16 v2, -0.5, v12, v2
	v_sub_f16_e32 v12, v13, v11
	v_lshrrev_b32_e32 v46, 16, v3
	v_add_f16_e32 v13, v28, v13
	v_fmac_f16_e32 v28, -0.5, v24
	v_sub_f16_e32 v24, v26, v27
	v_fmamk_f16 v26, v12, 0xbaee, v2
	v_fmac_f16_e32 v2, 0x3aee, v12
	v_add_f16_e32 v12, v29, v30
	v_add_f16_e32 v42, v42, v27
	;; [unrolled: 1-line block ×3, first 2 shown]
	v_fmamk_f16 v13, v24, 0x3aee, v28
	v_add_f16_e32 v27, v3, v29
	v_fmac_f16_e32 v28, 0xbaee, v24
	v_add_f16_e32 v24, v8, v6
	v_fmac_f16_e32 v3, -0.5, v12
	v_sub_f16_e32 v12, v8, v6
	v_add_f16_e32 v8, v46, v8
	v_lshrrev_b32_e32 v51, 16, v0
	v_fmac_f16_e32 v46, -0.5, v24
	v_sub_f16_e32 v24, v29, v30
	v_add_f16_e32 v21, v21, v56
	v_add_f16_e32 v6, v8, v6
	v_add_f16_e32 v8, v36, v37
	v_add_f16_e32 v27, v27, v30
	v_fmamk_f16 v29, v12, 0xbaee, v3
	v_fmac_f16_e32 v3, 0x3aee, v12
	v_fmamk_f16 v12, v24, 0x3aee, v46
	v_fmac_f16_e32 v46, 0xbaee, v24
	v_add_f16_e32 v24, v9, v7
	v_add_f16_e32 v30, v0, v36
	v_fmac_f16_e32 v0, -0.5, v8
	v_sub_f16_e32 v8, v9, v7
	v_add_f16_e32 v9, v51, v9
	v_pack_b32_f16 v1, v21, v1
	v_pack_b32_f16 v4, v4, v22
	v_fmac_f16_e32 v51, -0.5, v24
	v_sub_f16_e32 v24, v36, v37
	v_add_f16_e32 v7, v9, v7
	v_pack_b32_f16 v9, v40, v38
	v_pack_b32_f16 v10, v41, v10
	ds_store_b32 v67, v1
	ds_store_b32 v99, v9 offset:1600
	ds_store_b32 v99, v4 offset:3200
	;; [unrolled: 1-line block ×3, first 2 shown]
	v_pack_b32_f16 v1, v39, v23
	v_pack_b32_f16 v4, v5, v25
	v_add_f16_e32 v30, v30, v37
	v_pack_b32_f16 v5, v42, v11
	v_fmamk_f16 v36, v8, 0xbaee, v0
	v_fmac_f16_e32 v0, 0x3aee, v8
	v_fmamk_f16 v8, v24, 0x3aee, v51
	v_pack_b32_f16 v9, v26, v13
	v_fmac_f16_e32 v51, 0xbaee, v24
	v_pack_b32_f16 v2, v2, v28
	v_pack_b32_f16 v6, v27, v6
	ds_store_b32 v99, v1 offset:1900
	ds_store_b32 v99, v4 offset:3500
	;; [unrolled: 1-line block ×6, first 2 shown]
	v_pack_b32_f16 v1, v29, v12
	v_pack_b32_f16 v2, v3, v46
	;; [unrolled: 1-line block ×5, first 2 shown]
	ds_store_b32 v19, v1 offset:1600
	ds_store_b32 v19, v2 offset:3200
	;; [unrolled: 1-line block ×5, first 2 shown]
	s_and_saveexec_b32 s1, s0
	s_cbranch_execz .LBB0_29
; %bb.28:
	v_mul_f16_e32 v0, v116, v15
	v_mul_f16_e32 v1, v118, v14
	;; [unrolled: 1-line block ×4, first 2 shown]
	s_delay_alu instid0(VALU_DEP_4) | instskip(NEXT) | instid1(VALU_DEP_4)
	v_fma_f16 v0, v35, v48, -v0
	v_fma_f16 v1, v34, v47, -v1
	s_delay_alu instid0(VALU_DEP_4) | instskip(NEXT) | instid1(VALU_DEP_4)
	v_fmac_f16_e32 v2, v34, v14
	v_fmac_f16_e32 v3, v35, v15
	s_delay_alu instid0(VALU_DEP_3) | instskip(SKIP_1) | instid1(VALU_DEP_3)
	v_add_f16_e32 v4, v1, v0
	v_add_f16_e32 v5, v1, v17
	;; [unrolled: 1-line block ×4, first 2 shown]
	v_sub_f16_e32 v2, v2, v3
	v_fmac_f16_e32 v17, -0.5, v4
	v_sub_f16_e32 v1, v1, v0
	v_fmac_f16_e32 v16, -0.5, v6
	v_add_f16_e32 v0, v0, v5
	v_add_f16_e32 v3, v7, v3
	v_fmamk_f16 v4, v2, 0xbaee, v17
	v_fmac_f16_e32 v17, 0x3aee, v2
	v_fmamk_f16 v2, v1, 0x3aee, v16
	v_fmac_f16_e32 v16, 0xbaee, v1
	v_pack_b32_f16 v0, v3, v0
	s_delay_alu instid0(VALU_DEP_3) | instskip(NEXT) | instid1(VALU_DEP_3)
	v_pack_b32_f16 v2, v2, v4
	v_pack_b32_f16 v1, v16, v17
	ds_store_b32 v67, v0 offset:1500
	ds_store_b32 v67, v1 offset:3100
	ds_store_b32 v67, v2 offset:4700
.LBB0_29:
	s_wait_alu 0xfffe
	s_or_b32 exec_lo, exec_lo, s1
	global_wb scope:SCOPE_SE
	s_wait_dscnt 0x0
	s_barrier_signal -1
	s_barrier_wait -1
	global_inv scope:SCOPE_SE
	ds_load_2addr_b32 v[7:8], v67 offset1:75
	ds_load_2addr_b32 v[2:3], v67 offset0:150 offset1:240
	v_add_nc_u32_e32 v0, 0x600, v67
	s_mov_b32 s6, 0xb4e81b4f
	s_mov_b32 s7, 0x3f4b4e81
	ds_load_2addr_b32 v[4:5], v0 offset0:96 offset1:171
	s_wait_dscnt 0x2
	v_lshrrev_b32_e32 v1, 16, v7
	s_wait_dscnt 0x1
	v_lshrrev_b32_e32 v0, 16, v3
	v_mul_f16_e32 v9, v97, v3
	v_mul_f16_e32 v6, v98, v7
	s_delay_alu instid0(VALU_DEP_2) | instskip(NEXT) | instid1(VALU_DEP_2)
	v_fma_f16 v9, v95, v0, -v9
	v_fma_f16 v6, v92, v1, -v6
	v_mul_f16_e32 v1, v98, v1
	v_mul_f16_e32 v0, v97, v0
	s_delay_alu instid0(VALU_DEP_4) | instskip(NEXT) | instid1(VALU_DEP_4)
	v_cvt_f32_f16_e32 v9, v9
	v_cvt_f32_f16_e32 v6, v6
	s_delay_alu instid0(VALU_DEP_4) | instskip(NEXT) | instid1(VALU_DEP_4)
	v_fmac_f16_e32 v1, v92, v7
	v_fmac_f16_e32 v0, v95, v3
	s_wait_dscnt 0x0
	v_mul_f16_e32 v3, v96, v4
	v_cvt_f64_f32_e32 v[9:10], v9
	v_cvt_f64_f32_e32 v[6:7], v6
	v_cvt_f32_f16_e32 v1, v1
	v_cvt_f32_f16_e32 v0, v0
	s_delay_alu instid0(VALU_DEP_2) | instskip(SKIP_1) | instid1(VALU_DEP_3)
	v_cvt_f64_f32_e32 v[11:12], v1
	v_lshrrev_b32_e32 v1, 16, v4
	v_cvt_f64_f32_e32 v[13:14], v0
	s_delay_alu instid0(VALU_DEP_2) | instskip(SKIP_1) | instid1(VALU_DEP_2)
	v_mul_f16_e32 v0, v96, v1
	v_fma_f16 v17, v94, v1, -v3
	v_fmac_f16_e32 v0, v94, v4
	v_mad_co_u64_u32 v[3:4], null, s10, v33, 0
	s_delay_alu instid0(VALU_DEP_3) | instskip(SKIP_1) | instid1(VALU_DEP_4)
	v_cvt_f32_f16_e32 v19, v17
	v_mad_co_u64_u32 v[17:18], null, s8, v90, 0
	v_cvt_f32_f16_e32 v16, v0
	s_delay_alu instid0(VALU_DEP_3) | instskip(SKIP_1) | instid1(VALU_DEP_1)
	v_cvt_f64_f32_e32 v[19:20], v19
	v_mad_co_u64_u32 v[21:22], null, s11, v33, v[4:5]
	v_dual_mov_b32 v4, v21 :: v_dual_add_nc_u32 v15, 0x800, v67
	ds_load_2addr_b32 v[0:1], v15 offset0:118 offset1:208
	v_cvt_f64_f32_e32 v[15:16], v16
	s_wait_alu 0xfffe
	v_mul_f64_e32 v[9:10], s[6:7], v[9:10]
	v_mul_f64_e32 v[6:7], s[6:7], v[6:7]
	v_lshlrev_b64_e32 v[3:4], 2, v[3:4]
	v_mul_f64_e32 v[11:12], s[6:7], v[11:12]
	v_mul_f64_e32 v[13:14], s[6:7], v[13:14]
	v_mad_co_u64_u32 v[22:23], null, s9, v90, v[18:19]
	s_wait_dscnt 0x0
	v_lshrrev_b32_e32 v23, 16, v1
	v_mul_f64_e32 v[19:20], s[6:7], v[19:20]
	s_delay_alu instid0(VALU_DEP_2)
	v_mul_f16_e32 v21, v93, v23
	v_bfe_u32 v25, v10, 20, 11
	v_mov_b32_e32 v18, v22
	v_add_co_u32 v22, s0, s4, v3
	s_wait_alu 0xf1ff
	v_add_co_ci_u32_e64 v24, s0, s5, v4, s0
	v_mul_f64_e32 v[3:4], s[6:7], v[15:16]
	v_sub_nc_u32_e32 v33, 0x3f1, v25
	v_add_nc_u32_e32 v25, 0xfffffc10, v25
	v_lshlrev_b64_e32 v[17:18], 2, v[17:18]
	v_and_or_b32 v6, 0x1ff, v7, v6
	v_fmac_f16_e32 v21, v91, v1
	v_and_or_b32 v9, 0x1ff, v10, v9
	v_and_or_b32 v11, 0x1ff, v12, v11
	;; [unrolled: 1-line block ×3, first 2 shown]
	v_add_co_u32 v15, s0, v22, v17
	s_wait_alu 0xf1ff
	v_add_co_ci_u32_e64 v16, s0, v24, v18, s0
	v_cmp_ne_u32_e64 s0, 0, v6
	v_cvt_f32_f16_e32 v21, v21
	v_bfe_u32 v22, v7, 20, 11
	v_lshrrev_b32_e32 v26, 8, v12
	v_bfe_u32 v27, v12, 20, 11
	s_wait_alu 0xf1ff
	v_cndmask_b32_e64 v6, 0, 1, s0
	v_cmp_ne_u32_e64 s0, 0, v9
	v_cvt_f64_f32_e32 v[17:18], v21
	v_lshrrev_b32_e32 v21, 8, v7
	v_sub_nc_u32_e32 v28, 0x3f1, v22
	v_add_nc_u32_e32 v22, 0xfffffc10, v22
	s_wait_alu 0xf1ff
	v_cndmask_b32_e64 v9, 0, 1, s0
	v_cmp_ne_u32_e64 s0, 0, v11
	v_and_or_b32 v6, 0xffe, v21, v6
	v_sub_nc_u32_e32 v34, 0x3f1, v27
	v_lshrrev_b32_e32 v24, 8, v10
	v_lshrrev_b32_e32 v29, 8, v14
	s_wait_alu 0xf1ff
	v_cndmask_b32_e64 v11, 0, 1, s0
	v_cmp_ne_u32_e64 s0, 0, v13
	v_lshl_or_b32 v36, v22, 12, v6
	v_bfe_u32 v30, v14, 20, 11
	v_add_nc_u32_e32 v27, 0xfffffc10, v27
	v_and_or_b32 v11, 0xffe, v26, v11
	s_wait_alu 0xf1ff
	v_cndmask_b32_e64 v13, 0, 1, s0
	v_cmp_ne_u32_e64 s0, 0, v6
	v_and_or_b32 v3, 0x1ff, v4, v3
	v_med3_i32 v26, v34, 0, 13
	v_or_b32_e32 v34, 0x1000, v6
	v_or_b32_e32 v39, 0x1000, v11
	s_wait_alu 0xf1ff
	v_cndmask_b32_e64 v6, 0, 1, s0
	v_cmp_ne_u32_e64 s0, 0, v3
	v_med3_i32 v21, v28, 0, 13
	v_and_or_b32 v9, 0xffe, v24, v9
	v_and_or_b32 v13, 0xffe, v29, v13
	v_lshrrev_b32_e32 v44, v26, v39
	s_wait_alu 0xf1ff
	v_cndmask_b32_e64 v3, 0, 1, s0
	v_cmp_ne_u32_e64 s0, 0, v11
	v_sub_nc_u32_e32 v28, 0x3f1, v30
	v_add_nc_u32_e32 v30, 0xfffffc10, v30
	v_med3_i32 v24, v33, 0, 13
	v_bfe_u32 v35, v4, 20, 11
	v_or_b32_e32 v29, 0x1000, v9
	v_lshl_or_b32 v40, v27, 12, v11
	s_wait_alu 0xf1ff
	v_cndmask_b32_e64 v11, 0, 1, s0
	v_lshrrev_b32_e32 v41, v21, v34
	v_cmp_ne_u32_e64 s0, 0, v13
	v_lshlrev_b32_e32 v26, v26, v44
	v_lshrrev_b32_e32 v33, 8, v4
	v_med3_i32 v28, v28, 0, 13
	v_sub_nc_u32_e32 v38, 0x3f1, v35
	v_or_b32_e32 v42, 0x1000, v13
	v_lshl_or_b32 v43, v30, 12, v13
	s_wait_alu 0xf1ff
	v_cndmask_b32_e64 v13, 0, 1, s0
	v_lshrrev_b32_e32 v45, v24, v29
	v_lshlrev_b32_e32 v21, v21, v41
	v_cmp_ne_u32_e64 s0, v26, v39
	v_and_or_b32 v3, 0xffe, v33, v3
	v_med3_i32 v33, v38, 0, 13
	v_lshrrev_b32_e32 v38, v28, v42
	v_lshlrev_b32_e32 v24, v24, v45
	s_wait_alu 0xf1ff
	v_cndmask_b32_e64 v26, 0, 1, s0
	v_cmp_ne_u32_e64 s0, v21, v34
	v_cmp_gt_i32_e64 s4, 1, v30
	v_lshlrev_b32_e32 v28, v28, v38
	v_lshl_or_b32 v11, v11, 9, 0x7c00
	v_or_b32_e32 v26, v44, v26
	s_wait_alu 0xf1ff
	v_cndmask_b32_e64 v21, 0, 1, s0
	v_cmp_ne_u32_e64 s0, v24, v29
	v_lshl_or_b32 v6, v6, 9, 0x7c00
	v_lshrrev_b32_e32 v12, 16, v12
	v_lshl_or_b32 v37, v25, 12, v9
	v_or_b32_e32 v21, v41, v21
	s_wait_alu 0xf1ff
	v_cndmask_b32_e64 v24, 0, 1, s0
	v_cmp_ne_u32_e64 s0, v28, v42
	v_lshrrev_b32_e32 v7, 16, v7
	v_lshl_or_b32 v13, v13, 9, 0x7c00
	v_mul_f16_e32 v1, v93, v1
	v_or_b32_e32 v24, v45, v24
	s_wait_alu 0xf1ff
	v_cndmask_b32_e64 v28, 0, 1, s0
	v_cmp_gt_i32_e64 s0, 1, v27
	v_lshrrev_b32_e32 v10, 16, v10
	v_fma_f16 v1, v91, v23, -v1
	v_lshrrev_b32_e32 v4, 16, v4
	v_or_b32_e32 v28, v38, v28
	s_wait_alu 0xf1ff
	v_cndmask_b32_e64 v26, v40, v26, s0
	v_cmp_gt_i32_e64 s0, 1, v22
	v_cvt_f32_f16_e32 v1, v1
	v_cndmask_b32_e64 v28, v43, v28, s4
	s_delay_alu instid0(VALU_DEP_4) | instskip(SKIP_3) | instid1(VALU_DEP_3)
	v_and_b32_e32 v29, 7, v26
	s_wait_alu 0xf1ff
	v_cndmask_b32_e64 v21, v36, v21, s0
	v_lshrrev_b32_e32 v26, 2, v26
	v_cmp_lt_i32_e64 s0, 5, v29
	s_delay_alu instid0(VALU_DEP_3) | instskip(SKIP_3) | instid1(VALU_DEP_4)
	v_and_b32_e32 v34, 7, v21
	v_cmp_eq_u32_e64 s1, 3, v29
	v_lshrrev_b32_e32 v21, 2, v21
	v_and_b32_e32 v29, 7, v28
	v_cmp_lt_i32_e64 s2, 5, v34
	v_cmp_eq_u32_e64 s3, 3, v34
	s_or_b32 s0, s1, s0
	s_delay_alu instid0(VALU_DEP_3)
	v_cmp_eq_u32_e64 s1, 3, v29
	s_wait_alu 0xfffe
	v_add_co_ci_u32_e64 v26, s0, 0, v26, s0
	s_or_b32 s0, s3, s2
	v_cmp_eq_u32_e64 s2, 0x40f, v22
	s_wait_alu 0xfffe
	v_add_co_ci_u32_e64 v21, s0, 0, v21, s0
	v_cmp_gt_i32_e64 s0, 31, v27
	s_wait_alu 0xf1ff
	s_delay_alu instid0(VALU_DEP_1) | instskip(SKIP_3) | instid1(VALU_DEP_2)
	v_cndmask_b32_e64 v26, 0x7c00, v26, s0
	v_cmp_gt_i32_e64 s0, 31, v22
	v_add_nc_u32_e32 v22, 0xfffffc10, v35
	s_wait_alu 0xf1ff
	v_cndmask_b32_e64 v21, 0x7c00, v21, s0
	v_cmp_eq_u32_e64 s0, 0x40f, v27
	s_delay_alu instid0(VALU_DEP_2) | instskip(SKIP_1) | instid1(VALU_DEP_2)
	v_cndmask_b32_e64 v6, v21, v6, s2
	s_wait_alu 0xf1ff
	v_cndmask_b32_e64 v11, v26, v11, s0
	v_cmp_lt_i32_e64 s0, 5, v29
	v_cmp_gt_i32_e64 s2, 1, v25
	v_lshrrev_b32_e32 v21, 2, v28
	v_and_or_b32 v6, 0x8000, v7, v6
	v_and_or_b32 v11, 0x8000, v12, v11
	s_or_b32 s0, s1, s0
	v_cndmask_b32_e64 v12, v37, v24, s2
	v_cmp_eq_u32_e64 s2, 0x40f, v30
	s_delay_alu instid0(VALU_DEP_3)
	v_and_b32_e32 v7, 0xffff, v11
	s_wait_alu 0xfffe
	v_add_co_ci_u32_e64 v11, s0, 0, v21, s0
	v_cmp_gt_i32_e64 s0, 31, v30
	v_and_b32_e32 v21, 7, v12
	v_lshl_or_b32 v6, v6, 16, v7
	v_or_b32_e32 v7, 0x1000, v3
	s_wait_alu 0xf1ff
	v_cndmask_b32_e64 v11, 0x7c00, v11, s0
	v_cmp_lt_i32_e64 s0, 5, v21
	v_cmp_eq_u32_e64 s1, 3, v21
	global_store_b32 v[15:16], v6, off
	v_cndmask_b32_e64 v6, v11, v13, s2
	v_lshrrev_b32_e32 v11, 2, v12
	v_lshrrev_b32_e32 v12, v33, v7
	s_or_b32 s0, s1, s0
	v_lshrrev_b32_e32 v13, 16, v14
	s_mul_u64 s[2:3], s[8:9], 0xf0
	s_wait_alu 0xfffe
	v_add_co_ci_u32_e64 v11, s0, 0, v11, s0
	v_lshlrev_b32_e32 v14, v33, v12
	v_cmp_gt_i32_e64 s0, 31, v25
	v_and_or_b32 v6, 0x8000, v13, v6
	s_lshl_b64 s[4:5], s[2:3], 2
	s_delay_alu instid0(VALU_DEP_2)
	v_cndmask_b32_e64 v21, 0x7c00, v11, s0
	v_cmp_ne_u32_e64 s0, v14, v7
	v_and_or_b32 v11, 0x1ff, v20, v19
	v_cvt_f64_f32_e32 v[13:14], v1
	v_lshl_or_b32 v19, v22, 12, v3
	v_lshrrev_b32_e32 v1, 8, v20
	s_wait_alu 0xf1ff
	v_cndmask_b32_e64 v7, 0, 1, s0
	v_cmp_ne_u32_e64 s0, 0, v9
	s_delay_alu instid0(VALU_DEP_2) | instskip(SKIP_1) | instid1(VALU_DEP_2)
	v_or_b32_e32 v7, v12, v7
	s_wait_alu 0xf1ff
	v_cndmask_b32_e64 v9, 0, 1, s0
	v_cmp_ne_u32_e64 s0, 0, v11
	v_mul_f64_e32 v[11:12], s[6:7], v[17:18]
	v_bfe_u32 v17, v20, 20, 11
	s_delay_alu instid0(VALU_DEP_4) | instskip(SKIP_3) | instid1(VALU_DEP_2)
	v_lshl_or_b32 v9, v9, 9, 0x7c00
	s_wait_alu 0xf1ff
	v_cndmask_b32_e64 v23, 0, 1, s0
	v_cmp_gt_i32_e64 s0, 1, v22
	v_and_or_b32 v1, 0xffe, v1, v23
	s_wait_alu 0xf1ff
	s_delay_alu instid0(VALU_DEP_2) | instskip(SKIP_3) | instid1(VALU_DEP_4)
	v_cndmask_b32_e64 v18, v19, v7, s0
	v_sub_nc_u32_e32 v7, 0x3f1, v17
	v_cmp_eq_u32_e64 s0, 0x40f, v25
	v_add_nc_u32_e32 v17, 0xfffffc10, v17
	v_and_b32_e32 v19, 7, v18
	s_delay_alu instid0(VALU_DEP_4)
	v_med3_i32 v23, v7, 0, 13
	s_wait_alu 0xf1ff
	v_cndmask_b32_e64 v9, v21, v9, s0
	v_or_b32_e32 v21, 0x1000, v1
	v_add_nc_u32_e32 v7, 0xe00, v67
	v_cmp_lt_i32_e64 s0, 5, v19
	v_cmp_eq_u32_e64 s1, 3, v19
	v_and_or_b32 v9, 0x8000, v10, v9
	v_lshrrev_b32_e32 v24, v23, v21
	v_and_b32_e32 v10, 0xffff, v6
	v_lshrrev_b32_e32 v18, 2, v18
	s_or_b32 s0, s1, s0
	ds_load_2addr_b32 v[6:7], v7 offset0:64 offset1:139
	v_lshlrev_b32_e32 v19, v23, v24
	v_lshl_or_b32 v23, v9, 16, v10
	s_wait_alu 0xfffe
	v_add_co_ci_u32_e64 v9, s0, 0, v18, s0
	s_delay_alu instid0(VALU_DEP_3) | instskip(SKIP_2) | instid1(VALU_DEP_2)
	v_cmp_ne_u32_e64 s0, v19, v21
	v_lshl_or_b32 v21, v17, 12, v1
	s_wait_alu 0xf1ff
	v_cndmask_b32_e64 v10, 0, 1, s0
	v_cmp_gt_i32_e64 s0, 31, v22
	v_and_or_b32 v11, 0x1ff, v12, v11
	s_delay_alu instid0(VALU_DEP_3) | instskip(SKIP_1) | instid1(VALU_DEP_3)
	v_or_b32_e32 v19, v24, v10
	s_wait_alu 0xf1ff
	v_cndmask_b32_e64 v18, 0x7c00, v9, s0
	v_cmp_ne_u32_e64 s0, 0, v3
	v_mul_f64_e32 v[9:10], s[6:7], v[13:14]
	s_wait_dscnt 0x0
	v_lshrrev_b32_e32 v24, 16, v6
	v_lshrrev_b32_e32 v14, 8, v12
	s_wait_alu 0xf1ff
	v_cndmask_b32_e64 v3, 0, 1, s0
	v_cmp_gt_i32_e64 s0, 1, v17
	s_delay_alu instid0(VALU_DEP_2) | instskip(SKIP_1) | instid1(VALU_DEP_2)
	v_lshl_or_b32 v3, v3, 9, 0x7c00
	s_wait_alu 0xf1ff
	v_cndmask_b32_e64 v13, v21, v19, s0
	v_cmp_ne_u32_e64 s0, 0, v11
	v_mul_f16_e32 v19, v89, v24
	v_bfe_u32 v21, v12, 20, 11
	s_delay_alu instid0(VALU_DEP_4)
	v_and_b32_e32 v25, 7, v13
	s_wait_alu 0xf1ff
	v_cndmask_b32_e64 v11, 0, 1, s0
	v_cmp_eq_u32_e64 s0, 0x40f, v22
	v_fmac_f16_e32 v19, v88, v6
	v_cmp_eq_u32_e64 s1, 3, v25
	s_delay_alu instid0(VALU_DEP_4)
	v_and_or_b32 v11, 0xffe, v14, v11
	v_sub_nc_u32_e32 v14, 0x3f1, v21
	s_wait_alu 0xf1ff
	v_cndmask_b32_e64 v3, v18, v3, s0
	v_cmp_lt_i32_e64 s0, 5, v25
	v_cvt_f32_f16_e32 v18, v19
	v_lshrrev_b32_e32 v25, 2, v13
	v_or_b32_e32 v19, 0x1000, v11
	v_med3_i32 v22, v14, 0, 13
	s_or_b32 s0, s1, s0
	v_cvt_f64_f32_e32 v[13:14], v18
	s_wait_alu 0xfffe
	v_add_co_ci_u32_e64 v25, s0, 0, v25, s0
	v_lshrrev_b32_e32 v18, v22, v19
	v_cmp_gt_i32_e64 s0, 31, v17
	v_and_or_b32 v26, 0x8000, v4, v3
	v_mul_f16_e32 v4, v89, v6
	v_add_nc_u32_e32 v6, 0xfffffc10, v21
	v_lshlrev_b32_e32 v3, v22, v18
	s_wait_alu 0xf1ff
	v_cndmask_b32_e64 v22, 0x7c00, v25, s0
	v_cmp_ne_u32_e64 s0, 0, v1
	v_and_or_b32 v9, 0x1ff, v10, v9
	v_fma_f16 v4, v88, v24, -v4
	v_lshrrev_b32_e32 v21, 8, v10
	v_bfe_u32 v24, v10, 20, 11
	s_wait_alu 0xf1ff
	v_cndmask_b32_e64 v1, 0, 1, s0
	v_cmp_ne_u32_e64 s0, v3, v19
	v_lshl_or_b32 v19, v6, 12, v11
	v_lshrrev_b32_e32 v10, 16, v10
	s_delay_alu instid0(VALU_DEP_4) | instskip(SKIP_3) | instid1(VALU_DEP_2)
	v_lshl_or_b32 v1, v1, 9, 0x7c00
	s_wait_alu 0xf1ff
	v_cndmask_b32_e64 v3, 0, 1, s0
	v_cmp_ne_u32_e64 s0, 0, v9
	v_or_b32_e32 v18, v18, v3
	v_cvt_f32_f16_e32 v3, v4
	s_wait_alu 0xf1ff
	s_delay_alu instid0(VALU_DEP_3) | instskip(SKIP_1) | instid1(VALU_DEP_3)
	v_cndmask_b32_e64 v9, 0, 1, s0
	v_cmp_gt_i32_e64 s0, 1, v6
	v_cvt_f64_f32_e32 v[3:4], v3
	s_delay_alu instid0(VALU_DEP_3) | instskip(SKIP_1) | instid1(VALU_DEP_3)
	v_and_or_b32 v9, 0xffe, v21, v9
	s_wait_alu 0xf1ff
	v_cndmask_b32_e64 v18, v19, v18, s0
	v_sub_nc_u32_e32 v19, 0x3f1, v24
	v_cmp_eq_u32_e64 s0, 0x40f, v17
	v_lshrrev_b32_e32 v17, 16, v20
	v_or_b32_e32 v21, 0x1000, v9
	v_and_b32_e32 v20, 7, v18
	v_med3_i32 v19, v19, 0, 13
	s_wait_alu 0xf1ff
	v_cndmask_b32_e64 v1, v22, v1, s0
	v_add_co_u32 v15, s0, v15, s4
	s_wait_alu 0xf1ff
	v_add_co_ci_u32_e64 v16, s0, s5, v16, s0
	v_lshrrev_b32_e32 v22, v19, v21
	v_mul_f64_e32 v[13:14], s[6:7], v[13:14]
	v_cmp_lt_i32_e64 s0, 5, v20
	v_cmp_eq_u32_e64 s1, 3, v20
	v_and_or_b32 v1, 0x8000, v17, v1
	v_and_b32_e32 v17, 0xffff, v26
	v_lshrrev_b32_e32 v18, 2, v18
	v_lshlrev_b32_e32 v19, v19, v22
	s_or_b32 s0, s1, s0
	global_store_b32 v[15:16], v23, off
	v_lshl_or_b32 v1, v1, 16, v17
	s_wait_alu 0xfffe
	v_add_co_ci_u32_e64 v17, s0, 0, v18, s0
	v_cmp_ne_u32_e64 s0, v19, v21
	v_add_nc_u32_e32 v19, 0xfffffc10, v24
	v_lshrrev_b32_e32 v21, 16, v8
	s_wait_alu 0xf1ff
	s_delay_alu instid0(VALU_DEP_3) | instskip(SKIP_2) | instid1(VALU_DEP_3)
	v_cndmask_b32_e64 v18, 0, 1, s0
	v_cmp_ne_u32_e64 s0, 0, v11
	v_lshl_or_b32 v20, v19, 12, v9
	v_or_b32_e32 v18, v22, v18
	s_wait_alu 0xf1ff
	s_delay_alu instid0(VALU_DEP_3) | instskip(SKIP_2) | instid1(VALU_DEP_3)
	v_cndmask_b32_e64 v11, 0, 1, s0
	v_cmp_gt_i32_e64 s0, 31, v6
	v_mul_f64_e32 v[3:4], s[6:7], v[3:4]
	v_lshl_or_b32 v11, v11, 9, 0x7c00
	s_wait_alu 0xf1ff
	s_delay_alu instid0(VALU_DEP_3) | instskip(SKIP_2) | instid1(VALU_DEP_1)
	v_cndmask_b32_e64 v17, 0x7c00, v17, s0
	v_cmp_gt_i32_e64 s0, 1, v19
	s_wait_alu 0xf1ff
	v_cndmask_b32_e64 v18, v20, v18, s0
	v_mul_f16_e32 v20, v87, v21
	v_add_co_u32 v15, s0, v15, s4
	s_wait_alu 0xf1ff
	v_add_co_ci_u32_e64 v16, s0, s5, v16, s0
	v_cmp_eq_u32_e64 s0, 0x40f, v6
	v_fmac_f16_e32 v20, v85, v8
	v_and_b32_e32 v22, 7, v18
	v_mul_f16_e32 v8, v87, v8
	global_store_b32 v[15:16], v1, off
	s_wait_alu 0xf1ff
	v_cndmask_b32_e64 v6, v17, v11, s0
	v_and_or_b32 v11, 0x1ff, v14, v13
	v_lshrrev_b32_e32 v13, 16, v12
	v_cvt_f32_f16_e32 v12, v20
	v_cmp_lt_i32_e64 s0, 5, v22
	v_cmp_eq_u32_e64 s1, 3, v22
	v_cmp_ne_u32_e64 s2, 0, v11
	v_and_or_b32 v6, 0x8000, v13, v6
	v_cvt_f64_f32_e32 v[11:12], v12
	v_lshrrev_b32_e32 v13, 2, v18
	v_lshrrev_b32_e32 v20, 8, v14
	s_wait_alu 0xf1ff
	v_cndmask_b32_e64 v17, 0, 1, s2
	v_bfe_u32 v22, v14, 20, 11
	s_or_b32 s0, s1, s0
	v_fma_f16 v8, v85, v21, -v8
	s_wait_alu 0xfffe
	v_add_co_ci_u32_e64 v13, s0, 0, v13, s0
	v_cmp_ne_u32_e64 s0, 0, v9
	v_and_or_b32 v20, 0xffe, v20, v17
	v_sub_nc_u32_e32 v17, 0x3f1, v22
	v_and_or_b32 v3, 0x1ff, v4, v3
	v_cvt_f32_f16_e32 v8, v8
	s_wait_alu 0xf1ff
	v_cndmask_b32_e64 v9, 0, 1, s0
	v_cmp_gt_i32_e64 s0, 31, v19
	v_or_b32_e32 v23, 0x1000, v20
	v_med3_i32 v17, v17, 0, 13
	v_bfe_u32 v21, v4, 20, 11
	v_lshl_or_b32 v9, v9, 9, 0x7c00
	s_wait_alu 0xf1ff
	v_cndmask_b32_e64 v13, 0x7c00, v13, s0
	v_cmp_eq_u32_e64 s0, 0x40f, v19
	v_lshrrev_b32_e32 v24, v17, v23
	v_lshrrev_b32_e32 v19, 8, v4
	v_add_nc_u32_e32 v22, 0xfffffc10, v22
	v_and_b32_e32 v6, 0xffff, v6
	s_wait_alu 0xf1ff
	v_cndmask_b32_e64 v9, v13, v9, s0
	v_cmp_ne_u32_e64 s0, 0, v3
	v_lshlrev_b32_e32 v13, v17, v24
	v_cvt_f64_f32_e32 v[17:18], v8
	v_lshrrev_b32_e32 v14, 16, v14
	s_wait_alu 0xf1ff
	v_cndmask_b32_e64 v3, 0, 1, s0
	v_cmp_ne_u32_e64 s0, v13, v23
	v_and_or_b32 v13, 0x8000, v10, v9
	v_sub_nc_u32_e32 v9, 0x3f1, v21
	s_delay_alu instid0(VALU_DEP_4)
	v_and_or_b32 v3, 0xffe, v19, v3
	s_wait_alu 0xf1ff
	v_cndmask_b32_e64 v8, 0, 1, s0
	v_mul_f64_e32 v[10:11], s[6:7], v[11:12]
	v_med3_i32 v12, v9, 0, 13
	v_lshl_or_b32 v19, v22, 12, v20
	v_or_b32_e32 v23, 0x1000, v3
	v_or_b32_e32 v8, v24, v8
	v_cmp_gt_i32_e64 s0, 1, v22
	v_add_nc_u32_e32 v9, 0x400, v67
	v_lshl_or_b32 v1, v13, 16, v6
	v_lshrrev_b32_e32 v24, v12, v23
	s_wait_alu 0xf1ff
	v_cndmask_b32_e64 v19, v19, v8, s0
	ds_load_2addr_b32 v[8:9], v9 offset0:59 offset1:134
	v_lshlrev_b32_e32 v25, v12, v24
	v_add_co_u32 v12, s0, v15, s4
	v_and_b32_e32 v6, 7, v19
	s_wait_alu 0xf1ff
	v_add_co_ci_u32_e64 v13, s0, s5, v16, s0
	v_cmp_ne_u32_e64 s2, v25, v23
	s_delay_alu instid0(VALU_DEP_3)
	v_cmp_lt_i32_e64 s0, 5, v6
	v_cmp_eq_u32_e64 s1, 3, v6
	v_lshrrev_b32_e32 v6, 2, v19
	s_wait_alu 0xf1ff
	v_cndmask_b32_e64 v15, 0, 1, s2
	v_add_nc_u32_e32 v19, 0xfffffc10, v21
	global_store_b32 v[12:13], v1, off
	s_or_b32 s0, s1, s0
	s_wait_alu 0xfffe
	v_add_co_ci_u32_e64 v6, s0, 0, v6, s0
	v_cmp_ne_u32_e64 s0, 0, v20
	v_or_b32_e32 v21, v24, v15
	v_mul_f64_e32 v[15:16], s[6:7], v[17:18]
	v_lshl_or_b32 v23, v19, 12, v3
	s_wait_dscnt 0x0
	v_lshrrev_b32_e32 v24, 16, v8
	s_wait_alu 0xf1ff
	v_cndmask_b32_e64 v17, 0, 1, s0
	v_cmp_gt_i32_e64 s0, 1, v19
	v_and_or_b32 v10, 0x1ff, v11, v10
	v_mul_f16_e32 v18, v86, v24
	s_delay_alu instid0(VALU_DEP_4)
	v_lshl_or_b32 v17, v17, 9, 0x7c00
	s_wait_alu 0xf1ff
	v_cndmask_b32_e64 v20, v23, v21, s0
	v_cmp_gt_i32_e64 s0, 31, v22
	v_cmp_ne_u32_e64 s1, 0, v10
	v_fmac_f16_e32 v18, v83, v8
	v_bfe_u32 v23, v11, 20, 11
	v_and_b32_e32 v21, 7, v20
	s_wait_alu 0xf1ff
	v_cndmask_b32_e64 v6, 0x7c00, v6, s0
	v_cmp_eq_u32_e64 s0, 0x40f, v22
	v_cndmask_b32_e64 v10, 0, 1, s1
	v_lshrrev_b32_e32 v20, 2, v20
	v_cmp_eq_u32_e64 s1, 3, v21
	v_lshrrev_b32_e32 v22, 8, v11
	s_wait_alu 0xf1ff
	v_cndmask_b32_e64 v6, v6, v17, s0
	v_cvt_f32_f16_e32 v17, v18
	v_cmp_lt_i32_e64 s0, 5, v21
	v_sub_nc_u32_e32 v21, 0x3f1, v23
	v_and_or_b32 v10, 0xffe, v22, v10
	v_mul_f16_e32 v8, v86, v8
	v_cvt_f64_f32_e32 v[17:18], v17
	s_or_b32 s0, s1, s0
	v_med3_i32 v21, v21, 0, 13
	s_wait_alu 0xfffe
	v_add_co_ci_u32_e64 v20, s0, 0, v20, s0
	v_cmp_ne_u32_e64 s0, 0, v3
	v_or_b32_e32 v22, 0x1000, v10
	v_fma_f16 v8, v83, v24, -v8
	v_and_or_b32 v6, 0x8000, v14, v6
	s_wait_alu 0xf1ff
	v_cndmask_b32_e64 v3, 0, 1, s0
	v_cmp_gt_i32_e64 s0, 31, v19
	v_and_or_b32 v15, 0x1ff, v16, v15
	v_lshrrev_b32_e32 v25, v21, v22
	v_bfe_u32 v24, v16, 20, 11
	v_lshl_or_b32 v3, v3, 9, 0x7c00
	s_wait_alu 0xf1ff
	v_cndmask_b32_e64 v20, 0x7c00, v20, s0
	v_cmp_eq_u32_e64 s0, 0x40f, v19
	v_lshlrev_b32_e32 v21, v21, v25
	v_sub_nc_u32_e32 v14, 0x3f1, v24
	v_and_b32_e32 v6, 0xffff, v6
	s_wait_alu 0xf1ff
	v_cndmask_b32_e64 v19, v20, v3, s0
	v_cmp_ne_u32_e64 s0, 0, v15
	v_cvt_f32_f16_e32 v3, v8
	v_lshrrev_b32_e32 v15, 8, v16
	v_lshrrev_b32_e32 v20, 16, v4
	s_wait_alu 0xf1ff
	v_cndmask_b32_e64 v8, 0, 1, s0
	v_cvt_f64_f32_e32 v[3:4], v3
	v_cmp_ne_u32_e64 s0, v21, v22
	v_and_or_b32 v19, 0x8000, v20, v19
	v_add_nc_u32_e32 v21, 0xfffffc10, v23
	v_and_or_b32 v8, 0xffe, v15, v8
	v_med3_i32 v23, v14, 0, 13
	s_wait_alu 0xf1ff
	v_cndmask_b32_e64 v20, 0, 1, s0
	v_lshl_or_b32 v1, v19, 16, v6
	v_cmp_gt_i32_e64 s0, 1, v21
	v_or_b32_e32 v22, 0x1000, v8
	v_mul_f64_e32 v[14:15], s[6:7], v[17:18]
	v_or_b32_e32 v17, v25, v20
	v_lshl_or_b32 v18, v21, 12, v10
	v_add_nc_u32_e32 v19, 0xfffffc10, v24
	v_lshrrev_b32_e32 v20, v23, v22
	s_wait_alu 0xf1ff
	s_delay_alu instid0(VALU_DEP_3) | instskip(SKIP_1) | instid1(VALU_DEP_3)
	v_cndmask_b32_e64 v6, v18, v17, s0
	v_add_co_u32 v12, s0, v12, s4
	v_lshlrev_b32_e32 v17, v23, v20
	s_wait_alu 0xf1ff
	v_add_co_ci_u32_e64 v13, s0, s5, v13, s0
	v_and_b32_e32 v18, 7, v6
	v_cmp_gt_i32_e64 s2, 1, v19
	v_cmp_ne_u32_e64 s0, v17, v22
	global_store_b32 v[12:13], v1, off
	v_lshrrev_b32_e32 v1, 16, v5
	v_cmp_eq_u32_e64 s1, 3, v18
	v_lshrrev_b32_e32 v6, 2, v6
	s_wait_alu 0xf1ff
	v_cndmask_b32_e64 v17, 0, 1, s0
	v_cmp_lt_i32_e64 s0, 5, v18
	v_mul_f16_e32 v22, v84, v1
	s_delay_alu instid0(VALU_DEP_3) | instskip(SKIP_1) | instid1(VALU_DEP_4)
	v_or_b32_e32 v17, v20, v17
	v_lshl_or_b32 v20, v19, 12, v8
	s_or_b32 s0, s1, s0
	s_delay_alu instid0(VALU_DEP_3) | instskip(SKIP_1) | instid1(VALU_DEP_3)
	v_fmac_f16_e32 v22, v81, v5
	v_mul_f16_e32 v5, v84, v5
	v_cndmask_b32_e64 v20, v20, v17, s2
	v_mul_f64_e32 v[17:18], s[6:7], v[3:4]
	s_wait_alu 0xfffe
	v_add_co_ci_u32_e64 v3, s0, 0, v6, s0
	v_cmp_ne_u32_e64 s0, 0, v10
	v_and_b32_e32 v6, 7, v20
	v_cvt_f32_f16_e32 v10, v22
	v_and_or_b32 v14, 0x1ff, v15, v14
	v_lshrrev_b32_e32 v20, 2, v20
	s_wait_alu 0xf1ff
	v_cndmask_b32_e64 v4, 0, 1, s0
	v_cmp_gt_i32_e64 s0, 31, v21
	v_cmp_eq_u32_e64 s1, 3, v6
	v_cmp_ne_u32_e64 s2, 0, v14
	v_bfe_u32 v14, v15, 20, 11
	v_lshl_or_b32 v23, v4, 9, 0x7c00
	s_wait_alu 0xf1ff
	v_cndmask_b32_e64 v22, 0x7c00, v3, s0
	v_cmp_lt_i32_e64 s0, 5, v6
	v_cvt_f64_f32_e32 v[3:4], v10
	v_cndmask_b32_e64 v6, 0, 1, s2
	v_lshrrev_b32_e32 v10, 8, v15
	v_cmp_eq_u32_e64 s2, 0x40f, v21
	s_or_b32 s0, s1, s0
	v_fma_f16 v1, v81, v1, -v5
	v_lshrrev_b32_e32 v15, 16, v15
	s_delay_alu instid0(VALU_DEP_3)
	v_cndmask_b32_e64 v21, v22, v23, s2
	v_and_or_b32 v22, 0xffe, v10, v6
	s_wait_alu 0xfffe
	v_add_co_ci_u32_e64 v10, s0, 0, v20, s0
	v_sub_nc_u32_e32 v6, 0x3f1, v14
	v_cmp_ne_u32_e64 s0, 0, v8
	v_or_b32_e32 v20, 0x1000, v22
	v_lshrrev_b32_e32 v23, 16, v11
	v_cvt_f32_f16_e32 v1, v1
	v_med3_i32 v6, v6, 0, 13
	s_wait_alu 0xf1ff
	v_cndmask_b32_e64 v8, 0, 1, s0
	v_cmp_gt_i32_e64 s0, 31, v19
	v_add_nc_u32_e32 v14, 0xfffffc10, v14
	v_and_or_b32 v21, 0x8000, v23, v21
	v_lshrrev_b32_e32 v24, v6, v20
	v_lshl_or_b32 v8, v8, 9, 0x7c00
	s_wait_alu 0xf1ff
	v_cndmask_b32_e64 v10, 0x7c00, v10, s0
	v_and_or_b32 v11, 0x1ff, v18, v17
	v_cmp_eq_u32_e64 s0, 0x40f, v19
	v_lshlrev_b32_e32 v6, v6, v24
	v_bfe_u32 v19, v18, 20, 11
	v_and_b32_e32 v21, 0xffff, v21
	s_wait_alu 0xf1ff
	v_cndmask_b32_e64 v8, v10, v8, s0
	v_cmp_ne_u32_e64 s0, 0, v11
	v_lshrrev_b32_e32 v10, 8, v18
	s_wait_alu 0xf1ff
	s_delay_alu instid0(VALU_DEP_2) | instskip(SKIP_1) | instid1(VALU_DEP_2)
	v_cndmask_b32_e64 v5, 0, 1, s0
	v_cmp_ne_u32_e64 s0, v6, v20
	v_and_or_b32 v20, 0xffe, v10, v5
	s_wait_alu 0xf1ff
	s_delay_alu instid0(VALU_DEP_2)
	v_cndmask_b32_e64 v17, 0, 1, s0
	v_cvt_f64_f32_e32 v[10:11], v1
	v_sub_nc_u32_e32 v1, 0x3f1, v19
	v_mul_f64_e32 v[5:6], s[6:7], v[3:4]
	v_lshrrev_b32_e32 v3, 16, v16
	v_or_b32_e32 v4, v24, v17
	v_or_b32_e32 v17, 0x1000, v20
	v_med3_i32 v1, v1, 0, 13
	v_lshl_or_b32 v16, v14, 12, v22
	v_cmp_gt_i32_e64 s0, 1, v14
	v_and_or_b32 v8, 0x8000, v3, v8
	v_add_nc_u32_e32 v3, 0xc00, v67
	v_lshrrev_b32_e32 v23, v1, v17
	s_wait_alu 0xf1ff
	v_cndmask_b32_e64 v16, v16, v4, s0
	s_movk_i32 s0, 0xfc8b
	s_mov_b32 s1, -1
	v_lshlrev_b32_e32 v1, v1, v23
	s_wait_alu 0xfffe
	s_mul_u64 s[2:3], s[8:9], s[0:1]
	v_and_b32_e32 v24, 7, v16
	ds_load_2addr_b32 v[3:4], v3 offset0:27 offset1:102
	v_lshrrev_b32_e32 v16, 2, v16
	v_cmp_ne_u32_e64 s1, v1, v17
	v_lshl_or_b32 v25, v8, 16, v21
	v_cmp_lt_i32_e64 s0, 5, v24
	v_add_nc_u32_e32 v8, 0xfffffc10, v19
	s_wait_alu 0xfffe
	s_lshl_b64 s[8:9], s[2:3], 2
	v_cndmask_b32_e64 v1, 0, 1, s1
	v_cmp_eq_u32_e64 s1, 3, v24
	v_lshl_or_b32 v17, v8, 12, v20
	s_delay_alu instid0(VALU_DEP_3) | instskip(NEXT) | instid1(VALU_DEP_3)
	v_or_b32_e32 v1, v23, v1
	s_or_b32 s0, s1, s0
	s_wait_alu 0xfffe
	v_add_co_ci_u32_e64 v16, s0, 0, v16, s0
	v_cmp_ne_u32_e64 s0, 0, v22
	v_mul_f64_e32 v[10:11], s[6:7], v[10:11]
	s_wait_dscnt 0x0
	v_lshrrev_b32_e32 v21, 16, v3
	v_and_or_b32 v5, 0x1ff, v6, v5
	s_wait_alu 0xf1ff
	v_cndmask_b32_e64 v19, 0, 1, s0
	v_cmp_gt_i32_e64 s0, 1, v8
	v_bfe_u32 v24, v6, 20, 11
	v_mul_f16_e32 v22, v82, v21
	v_lshrrev_b32_e32 v23, 8, v6
	s_wait_alu 0xf1ff
	v_cndmask_b32_e64 v1, v17, v1, s0
	v_cmp_gt_i32_e64 s0, 31, v14
	v_lshl_or_b32 v17, v19, 9, 0x7c00
	v_fmac_f16_e32 v22, v79, v3
	v_mul_f16_e32 v3, v82, v3
	v_and_b32_e32 v19, 7, v1
	s_wait_alu 0xf1ff
	v_cndmask_b32_e64 v16, 0x7c00, v16, s0
	v_cmp_ne_u32_e64 s0, 0, v5
	v_lshrrev_b32_e32 v1, 2, v1
	v_fma_f16 v3, v79, v21, -v3
	v_cmp_eq_u32_e64 s1, 3, v19
	s_wait_alu 0xf1ff
	v_cndmask_b32_e64 v5, 0, 1, s0
	v_cmp_eq_u32_e64 s0, 0x40f, v14
	v_cvt_f32_f16_e32 v3, v3
	s_delay_alu instid0(VALU_DEP_3) | instskip(SKIP_1) | instid1(VALU_DEP_3)
	v_and_or_b32 v5, 0xffe, v23, v5
	s_wait_alu 0xf1ff
	v_cndmask_b32_e64 v14, v16, v17, s0
	v_sub_nc_u32_e32 v16, 0x3f1, v24
	v_cvt_f32_f16_e32 v17, v22
	v_cmp_lt_i32_e64 s0, 5, v19
	v_or_b32_e32 v19, 0x1000, v5
	v_and_or_b32 v26, 0x8000, v15, v14
	v_med3_i32 v22, v16, 0, 13
	v_cvt_f64_f32_e32 v[16:17], v17
	s_or_b32 s0, s1, s0
	s_wait_alu 0xfffe
	v_add_co_ci_u32_e64 v1, s0, 0, v1, s0
	v_cmp_ne_u32_e64 s0, 0, v20
	v_lshrrev_b32_e32 v23, v22, v19
	v_and_or_b32 v10, 0x1ff, v11, v10
	s_wait_alu 0xf1ff
	s_delay_alu instid0(VALU_DEP_3) | instskip(SKIP_3) | instid1(VALU_DEP_4)
	v_cndmask_b32_e64 v20, 0, 1, s0
	v_cmp_gt_i32_e64 s0, 31, v8
	v_lshlrev_b32_e32 v14, v22, v23
	v_add_nc_u32_e32 v22, 0xfffffc10, v24
	v_lshl_or_b32 v20, v20, 9, 0x7c00
	s_wait_alu 0xf1ff
	v_cndmask_b32_e64 v1, 0x7c00, v1, s0
	v_cmp_eq_u32_e64 s0, 0x40f, v8
	v_lshrrev_b32_e32 v8, 16, v18
	s_wait_alu 0xf1ff
	s_delay_alu instid0(VALU_DEP_2)
	v_cndmask_b32_e64 v1, v1, v20, s0
	v_cmp_ne_u32_e64 s0, v14, v19
	v_cvt_f64_f32_e32 v[14:15], v3
	v_lshrrev_b32_e32 v19, 8, v11
	v_bfe_u32 v20, v11, 20, 11
	v_and_or_b32 v1, 0x8000, v8, v1
	s_wait_alu 0xf1ff
	v_cndmask_b32_e64 v18, 0, 1, s0
	v_cmp_ne_u32_e64 s0, 0, v10
	v_lshl_or_b32 v8, v22, 12, v5
	v_lshrrev_b32_e32 v11, 16, v11
	s_delay_alu instid0(VALU_DEP_4)
	v_or_b32_e32 v3, v23, v18
	s_wait_alu 0xf1ff
	v_cndmask_b32_e64 v10, 0, 1, s0
	v_sub_nc_u32_e32 v18, 0x3f1, v20
	v_cmp_gt_i32_e64 s0, 1, v22
	v_mul_f64_e32 v[16:17], s[6:7], v[16:17]
	s_delay_alu instid0(VALU_DEP_4) | instskip(NEXT) | instid1(VALU_DEP_4)
	v_and_or_b32 v10, 0xffe, v19, v10
	v_med3_i32 v21, v18, 0, 13
	s_wait_alu 0xf1ff
	v_cndmask_b32_e64 v3, v8, v3, s0
	v_add_co_u32 v12, s0, v12, s8
	v_or_b32_e32 v8, 0x1000, v10
	v_and_b32_e32 v19, 0xffff, v26
	s_wait_alu 0xf1ff
	v_add_co_ci_u32_e64 v13, s0, s9, v13, s0
	v_and_b32_e32 v23, 7, v3
	v_lshrrev_b32_e32 v24, v21, v8
	v_add_co_u32 v18, s0, v12, s4
	v_lshl_or_b32 v1, v1, 16, v19
	s_wait_alu 0xf1ff
	v_add_co_ci_u32_e64 v19, s0, s5, v13, s0
	v_lshlrev_b32_e32 v21, v21, v24
	v_cmp_lt_i32_e64 s0, 5, v23
	v_cmp_eq_u32_e64 s1, 3, v23
	v_lshrrev_b32_e32 v3, 2, v3
	v_lshrrev_b32_e32 v23, 16, v7
	v_cmp_ne_u32_e64 s2, v21, v8
	v_add_nc_u32_e32 v26, 0xfffffc10, v20
	s_or_b32 s0, s1, s0
	v_mul_f64_e32 v[14:15], s[6:7], v[14:15]
	s_wait_alu 0xfffe
	v_add_co_ci_u32_e64 v3, s0, 0, v3, s0
	v_cndmask_b32_e64 v8, 0, 1, s2
	v_cmp_ne_u32_e64 s0, 0, v5
	v_mul_f16_e32 v20, v80, v23
	v_lshl_or_b32 v21, v26, 12, v10
	global_store_b32 v[12:13], v25, off
	global_store_b32 v[18:19], v1, off
	v_or_b32_e32 v8, v24, v8
	s_wait_alu 0xf1ff
	v_cndmask_b32_e64 v5, 0, 1, s0
	v_cmp_gt_i32_e64 s0, 1, v26
	v_fmac_f16_e32 v20, v78, v7
	v_mul_f16_e32 v7, v80, v7
	v_and_or_b32 v16, 0x1ff, v17, v16
	v_lshl_or_b32 v5, v5, 9, 0x7c00
	s_wait_alu 0xf1ff
	v_cndmask_b32_e64 v8, v21, v8, s0
	v_cmp_gt_i32_e64 s0, 31, v22
	v_cvt_f32_f16_e32 v20, v20
	v_cmp_ne_u32_e64 s1, 0, v16
	v_lshrrev_b32_e32 v16, 8, v17
	v_and_b32_e32 v24, 7, v8
	s_wait_alu 0xf1ff
	v_cndmask_b32_e64 v3, 0x7c00, v3, s0
	v_cmp_eq_u32_e64 s0, 0x40f, v22
	v_cvt_f64_f32_e32 v[20:21], v20
	v_bfe_u32 v22, v17, 20, 11
	v_fma_f16 v7, v78, v23, -v7
	v_lshrrev_b32_e32 v17, 16, v17
	s_wait_alu 0xf1ff
	v_cndmask_b32_e64 v3, v3, v5, s0
	v_lshrrev_b32_e32 v5, 16, v6
	v_cmp_lt_i32_e64 s0, 5, v24
	v_cndmask_b32_e64 v6, 0, 1, s1
	v_cmp_eq_u32_e64 s1, 3, v24
	s_delay_alu instid0(VALU_DEP_4) | instskip(SKIP_1) | instid1(VALU_DEP_4)
	v_and_or_b32 v3, 0x8000, v5, v3
	v_lshrrev_b32_e32 v5, 2, v8
	v_and_or_b32 v16, 0xffe, v16, v6
	s_delay_alu instid0(VALU_DEP_4)
	s_or_b32 s0, s1, s0
	v_sub_nc_u32_e32 v6, 0x3f1, v22
	v_and_or_b32 v14, 0x1ff, v15, v14
	s_wait_alu 0xfffe
	v_add_co_ci_u32_e64 v5, s0, 0, v5, s0
	v_cmp_ne_u32_e64 s0, 0, v10
	v_or_b32_e32 v10, 0x1000, v16
	v_med3_i32 v6, v6, 0, 13
	v_lshrrev_b32_e32 v27, 8, v15
	v_and_b32_e32 v3, 0xffff, v3
	s_wait_alu 0xf1ff
	v_cndmask_b32_e64 v8, 0, 1, s0
	v_cmp_gt_i32_e64 s0, 31, v26
	v_lshrrev_b32_e32 v23, v6, v10
	s_delay_alu instid0(VALU_DEP_3) | instskip(SKIP_1) | instid1(VALU_DEP_3)
	v_lshl_or_b32 v8, v8, 9, 0x7c00
	s_wait_alu 0xf1ff
	v_cndmask_b32_e64 v5, 0x7c00, v5, s0
	v_cmp_eq_u32_e64 s0, 0x40f, v26
	v_lshlrev_b32_e32 v26, v6, v23
	s_wait_alu 0xf1ff
	s_delay_alu instid0(VALU_DEP_2)
	v_cndmask_b32_e64 v24, v5, v8, s0
	v_cvt_f32_f16_e32 v5, v7
	v_cmp_ne_u32_e64 s0, 0, v14
	v_mul_f64_e32 v[7:8], s[6:7], v[20:21]
	v_bfe_u32 v20, v15, 20, 11
	v_add_nc_u32_e32 v21, 0xfffffc10, v22
	v_cvt_f64_f32_e32 v[5:6], v5
	s_wait_alu 0xf1ff
	v_cndmask_b32_e64 v14, 0, 1, s0
	v_cmp_ne_u32_e64 s0, v26, v10
	v_sub_nc_u32_e32 v22, 0x3f1, v20
	v_and_or_b32 v11, 0x8000, v11, v24
	v_cmp_eq_u32_e64 s2, 0x40f, v21
	v_and_or_b32 v14, 0xffe, v27, v14
	s_wait_alu 0xf1ff
	v_cndmask_b32_e64 v10, 0, 1, s0
	v_med3_i32 v22, v22, 0, 13
	v_cmp_gt_i32_e64 s0, 1, v21
	v_lshl_or_b32 v3, v11, 16, v3
	v_or_b32_e32 v26, 0x1000, v14
	v_or_b32_e32 v10, v23, v10
	v_lshl_or_b32 v23, v21, 12, v16
	v_lshrrev_b32_e32 v15, 16, v15
	s_delay_alu instid0(VALU_DEP_4) | instskip(SKIP_1) | instid1(VALU_DEP_3)
	v_lshrrev_b32_e32 v24, v22, v26
	s_wait_alu 0xf1ff
	v_cndmask_b32_e64 v23, v23, v10, s0
	v_add_co_u32 v10, s0, v18, s4
	s_delay_alu instid0(VALU_DEP_3) | instskip(SKIP_1) | instid1(VALU_DEP_4)
	v_lshlrev_b32_e32 v12, v22, v24
	v_lshrrev_b32_e32 v22, 16, v2
	v_and_b32_e32 v1, 7, v23
	s_wait_alu 0xf1ff
	v_add_co_ci_u32_e64 v11, s0, s5, v19, s0
	v_cmp_ne_u32_e64 s1, v12, v26
	v_mul_f16_e32 v13, v77, v22
	v_cmp_lt_i32_e64 s0, 5, v1
	v_add_nc_u32_e32 v18, 0xfffffc10, v20
	global_store_b32 v[10:11], v3, off
	s_wait_alu 0xf1ff
	v_cndmask_b32_e64 v12, 0, 1, s1
	v_cmp_eq_u32_e64 s1, 3, v1
	v_lshrrev_b32_e32 v1, 2, v23
	v_fmac_f16_e32 v13, v76, v2
	v_lshl_or_b32 v19, v18, 12, v14
	v_or_b32_e32 v12, v24, v12
	s_or_b32 s0, s1, s0
	v_mul_f64_e32 v[5:6], s[6:7], v[5:6]
	s_wait_alu 0xfffe
	v_add_co_ci_u32_e64 v1, s0, 0, v1, s0
	v_and_or_b32 v7, 0x1ff, v8, v7
	v_cmp_gt_i32_e64 s0, 1, v18
	v_cvt_f32_f16_e32 v13, v13
	v_lshrrev_b32_e32 v20, 8, v8
	v_bfe_u32 v23, v8, 20, 11
	v_mul_f16_e32 v2, v77, v2
	s_wait_alu 0xf1ff
	v_cndmask_b32_e64 v19, v19, v12, s0
	v_cmp_ne_u32_e64 s0, 0, v7
	v_cvt_f64_f32_e32 v[12:13], v13
	v_lshrrev_b32_e32 v8, 16, v8
	s_delay_alu instid0(VALU_DEP_4)
	v_and_b32_e32 v24, 7, v19
	s_wait_alu 0xf1ff
	v_cndmask_b32_e64 v7, 0, 1, s0
	v_cmp_ne_u32_e64 s0, 0, v16
	v_lshrrev_b32_e32 v19, 2, v19
	v_cmp_eq_u32_e64 s1, 3, v24
	s_delay_alu instid0(VALU_DEP_4)
	v_and_or_b32 v7, 0xffe, v20, v7
	v_sub_nc_u32_e32 v20, 0x3f1, v23
	s_wait_alu 0xf1ff
	v_cndmask_b32_e64 v16, 0, 1, s0
	v_cmp_gt_i32_e64 s0, 31, v21
	v_or_b32_e32 v25, 0x1000, v7
	v_med3_i32 v20, v20, 0, 13
	s_delay_alu instid0(VALU_DEP_4) | instskip(SKIP_4) | instid1(VALU_DEP_3)
	v_lshl_or_b32 v16, v16, 9, 0x7c00
	s_wait_alu 0xf1ff
	v_cndmask_b32_e64 v1, 0x7c00, v1, s0
	v_cmp_lt_i32_e64 s0, 5, v24
	v_lshrrev_b32_e32 v21, v20, v25
	v_cndmask_b32_e64 v16, v1, v16, s2
	s_delay_alu instid0(VALU_DEP_3)
	s_or_b32 s0, s1, s0
	s_wait_alu 0xfffe
	v_add_co_ci_u32_e64 v1, s0, 0, v19, s0
	v_lshlrev_b32_e32 v19, v20, v21
	v_cmp_gt_i32_e64 s0, 31, v18
	v_lshrrev_b32_e32 v24, 8, v6
	v_and_or_b32 v16, 0x8000, v17, v16
	s_wait_alu 0xf1ff
	s_delay_alu instid0(VALU_DEP_3)
	v_cndmask_b32_e64 v20, 0x7c00, v1, s0
	v_fma_f16 v1, v76, v22, -v2
	v_and_or_b32 v2, 0x1ff, v6, v5
	v_cmp_ne_u32_e64 s0, v19, v25
	v_add_nc_u32_e32 v19, 0xfffffc10, v23
	v_bfe_u32 v25, v6, 20, 11
	v_cvt_f32_f16_e32 v22, v1
	v_and_b32_e32 v16, 0xffff, v16
	s_wait_alu 0xf1ff
	v_cndmask_b32_e64 v5, 0, 1, s0
	v_cmp_ne_u32_e64 s0, 0, v2
	v_mul_f64_e32 v[1:2], s[6:7], v[12:13]
	v_cvt_f64_f32_e32 v[12:13], v22
	s_delay_alu instid0(VALU_DEP_4) | instskip(SKIP_4) | instid1(VALU_DEP_3)
	v_or_b32_e32 v5, v21, v5
	s_wait_alu 0xf1ff
	v_cndmask_b32_e64 v23, 0, 1, s0
	v_cmp_ne_u32_e64 s0, 0, v14
	v_lshl_or_b32 v21, v19, 12, v7
	v_and_or_b32 v22, 0xffe, v24, v23
	s_wait_alu 0xf1ff
	s_delay_alu instid0(VALU_DEP_3) | instskip(SKIP_3) | instid1(VALU_DEP_4)
	v_cndmask_b32_e64 v14, 0, 1, s0
	v_sub_nc_u32_e32 v23, 0x3f1, v25
	v_cmp_gt_i32_e64 s0, 1, v19
	v_or_b32_e32 v24, 0x1000, v22
	v_lshl_or_b32 v14, v14, 9, 0x7c00
	s_delay_alu instid0(VALU_DEP_4) | instskip(SKIP_3) | instid1(VALU_DEP_3)
	v_med3_i32 v23, v23, 0, 13
	s_wait_alu 0xf1ff
	v_cndmask_b32_e64 v5, v21, v5, s0
	v_cmp_eq_u32_e64 s0, 0x40f, v18
	v_lshrrev_b32_e32 v18, v23, v24
	s_delay_alu instid0(VALU_DEP_3) | instskip(SKIP_1) | instid1(VALU_DEP_3)
	v_and_b32_e32 v17, 7, v5
	s_wait_alu 0xf1ff
	v_cndmask_b32_e64 v14, v20, v14, s0
	v_lshrrev_b32_e32 v5, 2, v5
	s_delay_alu instid0(VALU_DEP_3) | instskip(NEXT) | instid1(VALU_DEP_3)
	v_cmp_lt_i32_e64 s0, 5, v17
	v_and_or_b32 v3, 0x8000, v15, v14
	v_lshlrev_b32_e32 v14, v23, v18
	v_cmp_eq_u32_e64 s1, 3, v17
	v_add_nc_u32_e32 v17, 0xfffffc10, v25
	s_delay_alu instid0(VALU_DEP_4) | instskip(NEXT) | instid1(VALU_DEP_4)
	v_lshl_or_b32 v16, v3, 16, v16
	v_cmp_ne_u32_e64 s2, v14, v24
	s_delay_alu instid0(VALU_DEP_4) | instskip(NEXT) | instid1(VALU_DEP_3)
	s_or_b32 s0, s1, s0
	v_lshl_or_b32 v15, v17, 12, v22
	s_wait_alu 0xfffe
	v_add_co_ci_u32_e64 v5, s0, 0, v5, s0
	v_cndmask_b32_e64 v14, 0, 1, s2
	v_cmp_ne_u32_e64 s0, 0, v7
	v_mul_f64_e32 v[12:13], s[6:7], v[12:13]
	v_and_or_b32 v1, 0x1ff, v2, v1
	v_cmp_eq_u32_e64 s2, 0x40f, v19
	v_or_b32_e32 v14, v18, v14
	s_wait_alu 0xf1ff
	v_cndmask_b32_e64 v7, 0, 1, s0
	v_lshrrev_b32_e32 v18, 16, v9
	v_cmp_gt_i32_e64 s0, 1, v17
	v_lshrrev_b32_e32 v21, 8, v2
	v_bfe_u32 v23, v2, 20, 11
	v_lshl_or_b32 v7, v7, 9, 0x7c00
	v_lshrrev_b32_e32 v2, 16, v2
	s_wait_alu 0xf1ff
	v_cndmask_b32_e64 v20, v15, v14, s0
	v_mul_f16_e32 v14, v75, v18
	v_cmp_gt_i32_e64 s0, 31, v19
	s_delay_alu instid0(VALU_DEP_3) | instskip(NEXT) | instid1(VALU_DEP_3)
	v_and_b32_e32 v15, 7, v20
	v_fmac_f16_e32 v14, v74, v9
	s_wait_alu 0xf1ff
	s_delay_alu instid0(VALU_DEP_3)
	v_cndmask_b32_e64 v5, 0x7c00, v5, s0
	v_cmp_ne_u32_e64 s0, 0, v1
	v_mul_f16_e32 v9, v75, v9
	v_cmp_eq_u32_e64 s1, 3, v15
	v_cvt_f32_f16_e32 v14, v14
	v_cndmask_b32_e64 v5, v5, v7, s2
	s_wait_alu 0xf1ff
	v_cndmask_b32_e64 v1, 0, 1, s0
	v_cmp_lt_i32_e64 s0, 5, v15
	v_lshrrev_b32_e32 v7, 2, v20
	v_cvt_f64_f32_e32 v[14:15], v14
	v_and_or_b32 v24, 0x8000, v8, v5
	v_and_or_b32 v1, 0xffe, v21, v1
	s_or_b32 s0, s1, s0
	v_sub_nc_u32_e32 v21, 0x3f1, v23
	s_wait_alu 0xfffe
	v_add_co_ci_u32_e64 v7, s0, 0, v7, s0
	v_cmp_ne_u32_e64 s0, 0, v22
	v_or_b32_e32 v19, 0x1000, v1
	v_med3_i32 v20, v21, 0, 13
	v_and_or_b32 v8, 0x1ff, v13, v12
	s_wait_alu 0xf1ff
	v_cndmask_b32_e64 v21, 0, 1, s0
	v_cmp_gt_i32_e64 s0, 31, v17
	v_lshrrev_b32_e32 v22, v20, v19
	v_lshrrev_b32_e32 v12, 8, v13
	s_delay_alu instid0(VALU_DEP_4)
	v_lshl_or_b32 v21, v21, 9, 0x7c00
	s_wait_alu 0xf1ff
	v_cndmask_b32_e64 v7, 0x7c00, v7, s0
	v_cmp_eq_u32_e64 s0, 0x40f, v17
	v_lshlrev_b32_e32 v5, v20, v22
	s_wait_alu 0xf1ff
	s_delay_alu instid0(VALU_DEP_2) | instskip(SKIP_1) | instid1(VALU_DEP_3)
	v_cndmask_b32_e64 v17, v7, v21, s0
	v_fma_f16 v7, v74, v18, -v9
	v_cmp_ne_u32_e64 s0, v5, v19
	v_add_nc_u32_e32 v18, 0xfffffc10, v23
	v_bfe_u32 v19, v13, 20, 11
	v_lshrrev_b32_e32 v21, 16, v6
	v_cvt_f32_f16_e32 v7, v7
	s_wait_alu 0xf1ff
	v_cndmask_b32_e64 v5, 0, 1, s0
	v_cmp_ne_u32_e64 s0, 0, v8
	v_lshl_or_b32 v20, v18, 12, v1
	v_and_or_b32 v3, 0x8000, v21, v17
	v_cvt_f64_f32_e32 v[7:8], v7
	v_or_b32_e32 v5, v22, v5
	s_wait_alu 0xf1ff
	v_cndmask_b32_e64 v9, 0, 1, s0
	v_cmp_gt_i32_e64 s0, 1, v18
	v_and_b32_e32 v17, 0xffff, v24
	v_lshrrev_b32_e32 v13, 16, v13
	s_delay_alu instid0(VALU_DEP_4)
	v_and_or_b32 v22, 0xffe, v12, v9
	v_sub_nc_u32_e32 v9, 0x3f1, v19
	s_wait_alu 0xf1ff
	v_cndmask_b32_e64 v12, v20, v5, s0
	v_mul_f64_e32 v[5:6], s[6:7], v[14:15]
	v_lshl_or_b32 v17, v3, 16, v17
	v_or_b32_e32 v14, 0x1000, v22
	v_med3_i32 v15, v9, 0, 13
	v_and_b32_e32 v20, 7, v12
	v_add_co_u32 v9, s0, v10, s4
	s_wait_alu 0xf1ff
	v_add_co_ci_u32_e64 v10, s0, s5, v11, s0
	v_lshrrev_b32_e32 v21, v15, v14
	v_cmp_lt_i32_e64 s0, 5, v20
	v_cmp_eq_u32_e64 s1, 3, v20
	v_lshrrev_b32_e32 v11, 2, v12
	v_lshrrev_b32_e32 v20, 16, v0
	v_lshlrev_b32_e32 v3, v15, v21
	v_add_nc_u32_e32 v19, 0xfffffc10, v19
	s_or_b32 s0, s1, s0
	s_wait_alu 0xfffe
	v_add_co_ci_u32_e64 v11, s0, 0, v11, s0
	v_cmp_ne_u32_e64 s2, v3, v14
	v_mul_f16_e32 v12, v73, v20
	v_cmp_ne_u32_e64 s0, 0, v1
	v_lshl_or_b32 v14, v19, 12, v22
	s_wait_alu 0xf1ff
	v_cndmask_b32_e64 v3, 0, 1, s2
	v_fmac_f16_e32 v12, v72, v0
	v_cndmask_b32_e64 v1, 0, 1, s0
	v_mul_f64_e32 v[7:8], s[6:7], v[7:8]
	v_cmp_gt_i32_e64 s0, 1, v19
	v_or_b32_e32 v3, v21, v3
	v_cvt_f32_f16_e32 v12, v12
	v_lshl_or_b32 v1, v1, 9, 0x7c00
	s_wait_alu 0xf1ff
	s_delay_alu instid0(VALU_DEP_3) | instskip(SKIP_2) | instid1(VALU_DEP_3)
	v_cndmask_b32_e64 v3, v14, v3, s0
	v_cmp_gt_i32_e64 s0, 31, v18
	v_and_or_b32 v5, 0x1ff, v6, v5
	v_and_b32_e32 v23, 7, v3
	s_wait_alu 0xf1ff
	s_delay_alu instid0(VALU_DEP_3)
	v_cndmask_b32_e64 v21, 0x7c00, v11, s0
	v_cvt_f64_f32_e32 v[11:12], v12
	v_add_co_u32 v14, s0, v9, s4
	s_wait_alu 0xf1ff
	v_add_co_ci_u32_e64 v15, s0, s5, v10, s0
	v_cmp_eq_u32_e64 s0, 0x40f, v18
	v_cmp_ne_u32_e64 s1, 0, v5
	v_lshrrev_b32_e32 v3, 2, v3
	v_lshrrev_b32_e32 v18, 8, v6
	global_store_b32 v[9:10], v16, off
	global_store_b32 v[14:15], v17, off
	s_wait_alu 0xf1ff
	v_cndmask_b32_e64 v1, v21, v1, s0
	v_cmp_lt_i32_e64 s0, 5, v23
	v_cndmask_b32_e64 v5, 0, 1, s1
	v_cmp_eq_u32_e64 s1, 3, v23
	v_bfe_u32 v21, v6, 20, 11
	v_and_or_b32 v24, 0x8000, v2, v1
	v_lshrrev_b32_e32 v6, 16, v6
	v_and_or_b32 v5, 0xffe, v18, v5
	s_or_b32 s0, s1, s0
	v_sub_nc_u32_e32 v18, 0x3f1, v21
	s_wait_alu 0xfffe
	v_add_co_ci_u32_e64 v3, s0, 0, v3, s0
	v_cmp_ne_u32_e64 s0, 0, v22
	v_or_b32_e32 v23, 0x1000, v5
	v_med3_i32 v18, v18, 0, 13
	v_and_or_b32 v1, 0x1ff, v8, v7
	v_bfe_u32 v25, v8, 20, 11
	s_wait_alu 0xf1ff
	v_cndmask_b32_e64 v22, 0, 1, s0
	v_cmp_gt_i32_e64 s0, 31, v19
	v_lshrrev_b32_e32 v2, v18, v23
	s_delay_alu instid0(VALU_DEP_3) | instskip(SKIP_1) | instid1(VALU_DEP_3)
	v_lshl_or_b32 v22, v22, 9, 0x7c00
	s_wait_alu 0xf1ff
	v_cndmask_b32_e64 v3, 0x7c00, v3, s0
	v_cmp_eq_u32_e64 s0, 0x40f, v19
	s_wait_alu 0xf1ff
	s_delay_alu instid0(VALU_DEP_1)
	v_cndmask_b32_e64 v7, v3, v22, s0
	v_lshlrev_b32_e32 v3, v18, v2
	v_cmp_ne_u32_e64 s0, 0, v1
	v_mul_f16_e32 v18, v73, v0
	v_lshrrev_b32_e32 v22, 8, v8
	v_mul_f64_e32 v[0:1], s[6:7], v[11:12]
	v_sub_nc_u32_e32 v12, 0x3f1, v25
	s_wait_alu 0xf1ff
	v_cndmask_b32_e64 v19, 0, 1, s0
	v_cmp_ne_u32_e64 s0, v3, v23
	v_fma_f16 v11, v72, v20, -v18
	v_add_nc_u32_e32 v18, 0xfffffc10, v21
	v_med3_i32 v12, v12, 0, 13
	v_and_or_b32 v19, 0xffe, v22, v19
	s_wait_alu 0xf1ff
	v_cndmask_b32_e64 v3, 0, 1, s0
	v_cvt_f32_f16_e32 v11, v11
	v_lshl_or_b32 v21, v18, 12, v5
	v_cmp_gt_i32_e64 s0, 1, v18
	v_or_b32_e32 v22, 0x1000, v19
	v_or_b32_e32 v20, v2, v3
	v_cvt_f64_f32_e32 v[2:3], v11
	v_and_or_b32 v7, 0x8000, v13, v7
	v_and_b32_e32 v11, 0xffff, v24
	v_cmp_eq_u32_e64 s2, 0x40f, v18
	s_wait_alu 0xf1ff
	v_cndmask_b32_e64 v13, v21, v20, s0
	v_lshrrev_b32_e32 v20, v12, v22
	v_add_co_u32 v9, s0, v14, s8
	v_lshl_or_b32 v17, v7, 16, v11
	s_delay_alu instid0(VALU_DEP_4) | instskip(NEXT) | instid1(VALU_DEP_4)
	v_and_b32_e32 v7, 7, v13
	v_lshlrev_b32_e32 v11, v12, v20
	s_wait_alu 0xf1ff
	v_add_co_ci_u32_e64 v10, s0, s9, v15, s0
	v_lshrrev_b32_e32 v14, 16, v4
	v_cmp_lt_i32_e64 s0, 5, v7
	v_cmp_ne_u32_e64 s1, v11, v22
	v_add_nc_u32_e32 v15, 0xfffffc10, v25
	v_lshrrev_b32_e32 v8, 16, v8
	v_mul_f16_e32 v12, v71, v14
	s_wait_alu 0xf1ff
	v_cndmask_b32_e64 v11, 0, 1, s1
	v_cmp_eq_u32_e64 s1, 3, v7
	v_lshrrev_b32_e32 v7, 2, v13
	v_lshl_or_b32 v13, v15, 12, v19
	v_and_or_b32 v0, 0x1ff, v1, v0
	v_or_b32_e32 v11, v20, v11
	s_or_b32 s0, s1, s0
	v_fmac_f16_e32 v12, v69, v4
	s_wait_alu 0xfffe
	v_add_co_ci_u32_e64 v7, s0, 0, v7, s0
	v_cmp_gt_i32_e64 s0, 1, v15
	v_lshrrev_b32_e32 v16, 8, v1
	v_cvt_f32_f16_e32 v12, v12
	v_bfe_u32 v20, v1, 20, 11
	v_lshrrev_b32_e32 v1, 16, v1
	s_wait_alu 0xf1ff
	v_cndmask_b32_e64 v13, v13, v11, s0
	v_cmp_ne_u32_e64 s0, 0, v0
	v_cvt_f64_f32_e32 v[11:12], v12
	v_mul_f64_e32 v[2:3], s[6:7], v[2:3]
	s_delay_alu instid0(VALU_DEP_4)
	v_and_b32_e32 v21, 7, v13
	s_wait_alu 0xf1ff
	v_cndmask_b32_e64 v0, 0, 1, s0
	v_cmp_ne_u32_e64 s0, 0, v5
	v_lshrrev_b32_e32 v13, 2, v13
	v_cmp_eq_u32_e64 s1, 3, v21
	s_delay_alu instid0(VALU_DEP_4)
	v_and_or_b32 v0, 0xffe, v16, v0
	s_wait_alu 0xf1ff
	v_cndmask_b32_e64 v5, 0, 1, s0
	v_cmp_gt_i32_e64 s0, 31, v18
	v_sub_nc_u32_e32 v16, 0x3f1, v20
	v_or_b32_e32 v22, 0x1000, v0
	s_delay_alu instid0(VALU_DEP_4) | instskip(SKIP_4) | instid1(VALU_DEP_3)
	v_lshl_or_b32 v5, v5, 9, 0x7c00
	s_wait_alu 0xf1ff
	v_cndmask_b32_e64 v7, 0x7c00, v7, s0
	v_cmp_lt_i32_e64 s0, 5, v21
	v_med3_i32 v16, v16, 0, 13
	v_cndmask_b32_e64 v5, v7, v5, s2
	s_delay_alu instid0(VALU_DEP_3) | instskip(NEXT) | instid1(VALU_DEP_2)
	s_or_b32 s0, s1, s0
	v_lshrrev_b32_e32 v7, v16, v22
	s_wait_alu 0xfffe
	v_add_co_ci_u32_e64 v13, s0, 0, v13, s0
	v_cmp_ne_u32_e64 s0, 0, v19
	v_and_or_b32 v19, 0x8000, v6, v5
	v_lshlrev_b32_e32 v16, v16, v7
	s_wait_alu 0xf1ff
	s_delay_alu instid0(VALU_DEP_3) | instskip(SKIP_2) | instid1(VALU_DEP_3)
	v_cndmask_b32_e64 v18, 0, 1, s0
	v_cmp_gt_i32_e64 s0, 31, v15
	v_and_b32_e32 v19, 0xffff, v19
	v_lshl_or_b32 v18, v18, 9, 0x7c00
	s_wait_alu 0xf1ff
	s_delay_alu instid0(VALU_DEP_3) | instskip(SKIP_4) | instid1(VALU_DEP_3)
	v_cndmask_b32_e64 v13, 0x7c00, v13, s0
	v_cmp_ne_u32_e64 s0, v16, v22
	v_mul_f16_e32 v16, v71, v4
	v_and_or_b32 v2, 0x1ff, v3, v2
	s_wait_alu 0xf1ff
	v_cndmask_b32_e64 v5, 0, 1, s0
	v_cmp_eq_u32_e64 s0, 0x40f, v15
	v_add_nc_u32_e32 v15, 0xfffffc10, v20
	s_delay_alu instid0(VALU_DEP_3) | instskip(SKIP_1) | instid1(VALU_DEP_3)
	v_or_b32_e32 v7, v7, v5
	s_wait_alu 0xf1ff
	v_cndmask_b32_e64 v6, v13, v18, s0
	ds_load_b32 v13, v67 offset:4440
	v_mul_f64_e32 v[4:5], s[6:7], v[11:12]
	v_lshl_or_b32 v11, v15, 12, v0
	v_cmp_gt_i32_e64 s0, 1, v15
	v_fma_f16 v12, v69, v14, -v16
	v_bfe_u32 v14, v3, 20, 11
	v_and_or_b32 v8, 0x8000, v8, v6
	s_wait_alu 0xf1ff
	v_cndmask_b32_e64 v11, v11, v7, s0
	v_cmp_ne_u32_e64 s0, 0, v2
	v_cvt_f32_f16_e32 v7, v12
	v_lshrrev_b32_e32 v12, 8, v3
	v_lshl_or_b32 v8, v8, 16, v19
	v_and_b32_e32 v16, 7, v11
	s_wait_alu 0xf1ff
	v_cndmask_b32_e64 v2, 0, 1, s0
	v_cvt_f64_f32_e32 v[6:7], v7
	v_lshrrev_b32_e32 v11, 2, v11
	v_cmp_lt_i32_e64 s0, 5, v16
	s_delay_alu instid0(VALU_DEP_4)
	v_and_or_b32 v2, 0xffe, v12, v2
	v_sub_nc_u32_e32 v12, 0x3f1, v14
	s_wait_dscnt 0x0
	v_lshrrev_b32_e32 v18, 16, v13
	v_cmp_eq_u32_e64 s1, 3, v16
	v_or_b32_e32 v20, 0x1000, v2
	v_med3_i32 v12, v12, 0, 13
	s_delay_alu instid0(VALU_DEP_4) | instskip(NEXT) | instid1(VALU_DEP_4)
	v_mul_f16_e32 v21, v70, v18
	s_or_b32 s0, s1, s0
	s_wait_alu 0xfffe
	v_add_co_ci_u32_e64 v11, s0, 0, v11, s0
	v_lshrrev_b32_e32 v16, v12, v20
	v_fmac_f16_e32 v21, v68, v13
	v_cmp_ne_u32_e64 s0, 0, v0
	v_mul_f16_e32 v13, v70, v13
	s_delay_alu instid0(VALU_DEP_4) | instskip(NEXT) | instid1(VALU_DEP_4)
	v_lshlrev_b32_e32 v19, v12, v16
	v_cvt_f32_f16_e32 v12, v21
	s_wait_alu 0xf1ff
	v_cndmask_b32_e64 v0, 0, 1, s0
	v_cmp_gt_i32_e64 s0, 31, v15
	v_and_or_b32 v4, 0x1ff, v5, v4
	v_fma_f16 v13, v68, v18, -v13
	s_delay_alu instid0(VALU_DEP_4)
	v_lshl_or_b32 v0, v0, 9, 0x7c00
	s_wait_alu 0xf1ff
	v_cndmask_b32_e64 v21, 0x7c00, v11, s0
	v_cvt_f64_f32_e32 v[11:12], v12
	v_cmp_ne_u32_e64 s0, v19, v20
	v_add_nc_u32_e32 v20, 0xfffffc10, v14
	v_lshrrev_b32_e32 v14, 8, v5
	v_cvt_f32_f16_e32 v13, v13
	s_wait_alu 0xf1ff
	v_cndmask_b32_e64 v19, 0, 1, s0
	v_cmp_ne_u32_e64 s0, 0, v4
	v_lshl_or_b32 v18, v20, 12, v2
	v_mul_f64_e32 v[6:7], s[6:7], v[6:7]
	s_delay_alu instid0(VALU_DEP_4)
	v_or_b32_e32 v16, v16, v19
	s_wait_alu 0xf1ff
	v_cndmask_b32_e64 v4, 0, 1, s0
	v_bfe_u32 v19, v5, 20, 11
	v_cmp_gt_i32_e64 s0, 1, v20
	v_lshrrev_b32_e32 v5, 16, v5
	s_delay_alu instid0(VALU_DEP_4) | instskip(NEXT) | instid1(VALU_DEP_4)
	v_and_or_b32 v4, 0xffe, v14, v4
	v_sub_nc_u32_e32 v14, 0x3f1, v19
	s_wait_alu 0xf1ff
	v_cndmask_b32_e64 v18, v18, v16, s0
	v_cmp_eq_u32_e64 s0, 0x40f, v15
	v_add_nc_u32_e32 v19, 0xfffffc10, v19
	v_or_b32_e32 v22, 0x1000, v4
	v_med3_i32 v23, v14, 0, 13
	v_cvt_f64_f32_e32 v[13:14], v13
	s_wait_alu 0xf1ff
	v_cndmask_b32_e64 v0, v21, v0, s0
	v_and_b32_e32 v21, 7, v18
	v_add_co_u32 v15, s0, v9, s4
	v_lshrrev_b32_e32 v24, v23, v22
	s_wait_alu 0xf1ff
	v_add_co_ci_u32_e64 v16, s0, s5, v10, s0
	v_cmp_lt_i32_e64 s0, 5, v21
	v_cmp_eq_u32_e64 s1, 3, v21
	v_lshrrev_b32_e32 v18, 2, v18
	v_lshlrev_b32_e32 v23, v23, v24
	v_and_or_b32 v25, 0x8000, v1, v0
	s_delay_alu instid0(VALU_DEP_4)
	s_or_b32 s0, s1, s0
	v_mul_f64_e32 v[0:1], s[6:7], v[11:12]
	s_wait_alu 0xfffe
	v_add_co_ci_u32_e64 v11, s0, 0, v18, s0
	v_cmp_ne_u32_e64 s2, v23, v22
	v_cmp_ne_u32_e64 s0, 0, v2
	v_lshl_or_b32 v18, v19, 12, v4
	s_wait_alu 0xf1ff
	s_delay_alu instid0(VALU_DEP_3) | instskip(NEXT) | instid1(VALU_DEP_3)
	v_cndmask_b32_e64 v21, 0, 1, s2
	v_cndmask_b32_e64 v2, 0, 1, s0
	v_cmp_gt_i32_e64 s0, 31, v20
	v_and_or_b32 v6, 0x1ff, v7, v6
	s_delay_alu instid0(VALU_DEP_4) | instskip(NEXT) | instid1(VALU_DEP_4)
	v_or_b32_e32 v12, v24, v21
	v_lshl_or_b32 v2, v2, 9, 0x7c00
	s_wait_alu 0xf1ff
	v_cndmask_b32_e64 v11, 0x7c00, v11, s0
	v_cmp_gt_i32_e64 s0, 1, v19
	v_lshrrev_b32_e32 v21, 8, v7
	s_wait_alu 0xf1ff
	s_delay_alu instid0(VALU_DEP_2) | instskip(SKIP_2) | instid1(VALU_DEP_3)
	v_cndmask_b32_e64 v12, v18, v12, s0
	v_cmp_eq_u32_e64 s0, 0x40f, v20
	v_lshrrev_b32_e32 v18, 16, v3
	v_and_b32_e32 v20, 7, v12
	s_wait_alu 0xf1ff
	s_delay_alu instid0(VALU_DEP_3)
	v_cndmask_b32_e64 v11, v11, v2, s0
	v_cmp_ne_u32_e64 s0, 0, v6
	v_mul_f64_e32 v[2:3], s[6:7], v[13:14]
	v_bfe_u32 v13, v7, 20, 11
	v_cmp_eq_u32_e64 s1, 3, v20
	v_lshrrev_b32_e32 v12, 2, v12
	s_wait_alu 0xf1ff
	v_cndmask_b32_e64 v6, 0, 1, s0
	v_cmp_lt_i32_e64 s0, 5, v20
	v_and_or_b32 v11, 0x8000, v18, v11
	v_and_b32_e32 v14, 0xffff, v25
	v_sub_nc_u32_e32 v18, 0x3f1, v13
	v_and_or_b32 v6, 0xffe, v21, v6
	s_or_b32 s0, s1, s0
	v_and_or_b32 v0, 0x1ff, v1, v0
	s_wait_alu 0xfffe
	v_add_co_ci_u32_e64 v12, s0, 0, v12, s0
	v_lshl_or_b32 v11, v11, 16, v14
	v_or_b32_e32 v14, 0x1000, v6
	v_med3_i32 v18, v18, 0, 13
	v_cmp_ne_u32_e64 s0, 0, v4
	v_lshrrev_b32_e32 v21, 8, v1
	v_bfe_u32 v22, v1, 20, 11
	v_add_nc_u32_e32 v13, 0xfffffc10, v13
	v_lshrrev_b32_e32 v20, v18, v14
	s_wait_alu 0xf1ff
	v_cndmask_b32_e64 v4, 0, 1, s0
	v_cmp_gt_i32_e64 s0, 31, v19
	v_lshrrev_b32_e32 v7, 16, v7
	v_lshrrev_b32_e32 v1, 16, v1
	v_lshlrev_b32_e32 v18, v18, v20
	v_lshl_or_b32 v4, v4, 9, 0x7c00
	s_wait_alu 0xf1ff
	v_cndmask_b32_e64 v12, 0x7c00, v12, s0
	v_cmp_ne_u32_e64 s0, 0, v0
	s_wait_alu 0xf1ff
	s_delay_alu instid0(VALU_DEP_1) | instskip(SKIP_3) | instid1(VALU_DEP_4)
	v_cndmask_b32_e64 v0, 0, 1, s0
	v_cmp_ne_u32_e64 s0, v18, v14
	v_sub_nc_u32_e32 v18, 0x3f1, v22
	v_and_or_b32 v2, 0x1ff, v3, v2
	v_and_or_b32 v0, 0xffe, v21, v0
	s_wait_alu 0xf1ff
	v_cndmask_b32_e64 v14, 0, 1, s0
	v_cmp_eq_u32_e64 s0, 0x40f, v19
	v_med3_i32 v18, v18, 0, 13
	v_bfe_u32 v21, v3, 20, 11
	v_or_b32_e32 v19, 0x1000, v0
	s_wait_alu 0xf1ff
	v_cndmask_b32_e64 v4, v12, v4, s0
	v_or_b32_e32 v12, v20, v14
	v_lshl_or_b32 v14, v13, 12, v6
	v_cmp_gt_i32_e64 s0, 1, v13
	v_lshrrev_b32_e32 v20, 8, v3
	v_and_or_b32 v4, 0x8000, v5, v4
	v_sub_nc_u32_e32 v5, 0x3f1, v21
	s_wait_alu 0xf1ff
	v_cndmask_b32_e64 v12, v14, v12, s0
	v_lshrrev_b32_e32 v14, v18, v19
	v_cmp_ne_u32_e64 s0, 0, v2
	v_med3_i32 v5, v5, 0, 13
	v_and_b32_e32 v4, 0xffff, v4
	v_and_b32_e32 v23, 7, v12
	v_lshlrev_b32_e32 v18, v18, v14
	s_wait_alu 0xf1ff
	v_cndmask_b32_e64 v2, 0, 1, s0
	v_lshrrev_b32_e32 v12, 2, v12
	v_cmp_lt_i32_e64 s0, 5, v23
	v_cmp_ne_u32_e64 s1, v18, v19
	s_delay_alu instid0(VALU_DEP_4) | instskip(SKIP_2) | instid1(VALU_DEP_3)
	v_and_or_b32 v2, 0xffe, v20, v2
	v_add_nc_u32_e32 v20, 0xfffffc10, v22
	s_wait_alu 0xf1ff
	v_cndmask_b32_e64 v18, 0, 1, s1
	v_cmp_eq_u32_e64 s1, 3, v23
	v_or_b32_e32 v19, 0x1000, v2
	v_lshl_or_b32 v22, v20, 12, v0
	s_delay_alu instid0(VALU_DEP_4) | instskip(NEXT) | instid1(VALU_DEP_4)
	v_or_b32_e32 v14, v14, v18
	s_or_b32 s0, s1, s0
	s_delay_alu instid0(VALU_DEP_3) | instskip(SKIP_3) | instid1(VALU_DEP_3)
	v_lshrrev_b32_e32 v18, v5, v19
	s_wait_alu 0xfffe
	v_add_co_ci_u32_e64 v12, s0, 0, v12, s0
	v_cmp_gt_i32_e64 s0, 1, v20
	v_lshlrev_b32_e32 v5, v5, v18
	s_wait_alu 0xf1ff
	s_delay_alu instid0(VALU_DEP_2) | instskip(SKIP_2) | instid1(VALU_DEP_1)
	v_cndmask_b32_e64 v14, v22, v14, s0
	v_cmp_ne_u32_e64 s0, 0, v6
	s_wait_alu 0xf1ff
	v_cndmask_b32_e64 v6, 0, 1, s0
	v_cmp_ne_u32_e64 s0, v5, v19
	v_add_nc_u32_e32 v19, 0xfffffc10, v21
	v_and_b32_e32 v21, 7, v14
	s_delay_alu instid0(VALU_DEP_4)
	v_lshl_or_b32 v6, v6, 9, 0x7c00
	s_wait_alu 0xf1ff
	v_cndmask_b32_e64 v5, 0, 1, s0
	v_cmp_gt_i32_e64 s0, 31, v13
	v_cmp_gt_i32_e64 s2, 1, v19
	v_cmp_eq_u32_e64 s1, 3, v21
	s_delay_alu instid0(VALU_DEP_4) | instskip(SKIP_4) | instid1(VALU_DEP_3)
	v_or_b32_e32 v5, v18, v5
	v_lshl_or_b32 v18, v19, 12, v2
	s_wait_alu 0xf1ff
	v_cndmask_b32_e64 v12, 0x7c00, v12, s0
	v_cmp_lt_i32_e64 s0, 5, v21
	v_cndmask_b32_e64 v5, v18, v5, s2
	v_cmp_eq_u32_e64 s2, 0x40f, v13
	s_delay_alu instid0(VALU_DEP_3) | instskip(NEXT) | instid1(VALU_DEP_2)
	s_or_b32 s0, s1, s0
	v_and_b32_e32 v13, 7, v5
	s_delay_alu instid0(VALU_DEP_2)
	v_cndmask_b32_e64 v6, v12, v6, s2
	v_lshrrev_b32_e32 v12, 2, v14
	v_lshrrev_b32_e32 v5, 2, v5
	v_cmp_gt_i32_e64 s2, 31, v20
	v_cmp_eq_u32_e64 s1, 3, v13
	v_and_or_b32 v6, 0x8000, v7, v6
	s_wait_alu 0xfffe
	v_add_co_ci_u32_e64 v12, s0, 0, v12, s0
	v_cmp_ne_u32_e64 s0, 0, v0
	s_delay_alu instid0(VALU_DEP_3) | instskip(SKIP_1) | instid1(VALU_DEP_3)
	v_lshl_or_b32 v6, v6, 16, v4
	s_wait_alu 0xf1ff
	v_cndmask_b32_e64 v12, 0x7c00, v12, s2
	s_delay_alu instid0(VALU_DEP_3) | instskip(SKIP_1) | instid1(VALU_DEP_2)
	v_cndmask_b32_e64 v0, 0, 1, s0
	v_cmp_lt_i32_e64 s0, 5, v13
	v_lshl_or_b32 v0, v0, 9, 0x7c00
	s_delay_alu instid0(VALU_DEP_2) | instskip(SKIP_4) | instid1(VALU_DEP_1)
	s_or_b32 s0, s1, s0
	s_wait_alu 0xfffe
	v_add_co_ci_u32_e64 v5, s0, 0, v5, s0
	v_cmp_ne_u32_e64 s0, 0, v2
	s_wait_alu 0xf1ff
	v_cndmask_b32_e64 v2, 0, 1, s0
	v_cmp_eq_u32_e64 s0, 0x40f, v20
	s_delay_alu instid0(VALU_DEP_2) | instskip(SKIP_1) | instid1(VALU_DEP_2)
	v_lshl_or_b32 v2, v2, 9, 0x7c00
	s_wait_alu 0xf1ff
	v_cndmask_b32_e64 v0, v12, v0, s0
	v_cmp_gt_i32_e64 s0, 31, v19
	s_delay_alu instid0(VALU_DEP_2) | instskip(SKIP_1) | instid1(VALU_DEP_2)
	v_and_or_b32 v0, 0x8000, v1, v0
	s_wait_alu 0xf1ff
	v_cndmask_b32_e64 v5, 0x7c00, v5, s0
	v_cmp_eq_u32_e64 s0, 0x40f, v19
	s_delay_alu instid0(VALU_DEP_3) | instskip(SKIP_1) | instid1(VALU_DEP_2)
	v_and_b32_e32 v0, 0xffff, v0
	s_wait_alu 0xf1ff
	v_cndmask_b32_e64 v1, v5, v2, s0
	v_lshrrev_b32_e32 v5, 16, v3
	v_add_co_u32 v2, s0, v15, s4
	s_wait_alu 0xf1ff
	v_add_co_ci_u32_e64 v3, s0, s5, v16, s0
	s_delay_alu instid0(VALU_DEP_3) | instskip(NEXT) | instid1(VALU_DEP_3)
	v_and_or_b32 v1, 0x8000, v5, v1
	v_add_co_u32 v4, s0, v2, s4
	s_wait_alu 0xf1ff
	s_delay_alu instid0(VALU_DEP_3) | instskip(NEXT) | instid1(VALU_DEP_3)
	v_add_co_ci_u32_e64 v5, s0, s5, v3, s0
	v_lshl_or_b32 v7, v1, 16, v0
	s_delay_alu instid0(VALU_DEP_3) | instskip(SKIP_1) | instid1(VALU_DEP_3)
	v_add_co_u32 v0, s0, v4, s4
	s_wait_alu 0xf1ff
	v_add_co_ci_u32_e64 v1, s0, s5, v5, s0
	global_store_b32 v[9:10], v17, off
	global_store_b32 v[15:16], v8, off
	;; [unrolled: 1-line block ×5, first 2 shown]
	s_and_b32 exec_lo, exec_lo, vcc_lo
	s_cbranch_execz .LBB0_31
; %bb.30:
	global_load_b32 v2, v[31:32], off offset:900
	ds_load_b32 v3, v99 offset:900
	s_wait_dscnt 0x0
	v_lshrrev_b32_e32 v4, 16, v3
	s_wait_loadcnt 0x0
	v_lshrrev_b32_e32 v5, 16, v2
	s_delay_alu instid0(VALU_DEP_1) | instskip(SKIP_1) | instid1(VALU_DEP_2)
	v_mul_f16_e32 v6, v4, v5
	v_mul_f16_e32 v5, v3, v5
	v_fmac_f16_e32 v6, v3, v2
	s_delay_alu instid0(VALU_DEP_2) | instskip(NEXT) | instid1(VALU_DEP_2)
	v_fma_f16 v2, v2, v4, -v5
	v_cvt_f32_f16_e32 v3, v6
	s_delay_alu instid0(VALU_DEP_2) | instskip(NEXT) | instid1(VALU_DEP_2)
	v_cvt_f32_f16_e32 v4, v2
	v_cvt_f64_f32_e32 v[2:3], v3
	s_delay_alu instid0(VALU_DEP_2) | instskip(NEXT) | instid1(VALU_DEP_2)
	v_cvt_f64_f32_e32 v[4:5], v4
	v_mul_f64_e32 v[2:3], s[6:7], v[2:3]
	s_delay_alu instid0(VALU_DEP_2) | instskip(NEXT) | instid1(VALU_DEP_2)
	v_mul_f64_e32 v[4:5], s[6:7], v[4:5]
	v_and_or_b32 v2, 0x1ff, v3, v2
	s_delay_alu instid0(VALU_DEP_2)
	v_and_or_b32 v4, 0x1ff, v5, v4
	v_lshrrev_b32_e32 v6, 8, v3
	v_bfe_u32 v7, v3, 20, 11
	v_lshrrev_b32_e32 v8, 8, v5
	v_cmp_ne_u32_e32 vcc_lo, 0, v2
	v_bfe_u32 v9, v5, 20, 11
	v_lshrrev_b32_e32 v3, 16, v3
	v_sub_nc_u32_e32 v10, 0x3f1, v7
	v_lshrrev_b32_e32 v5, 16, v5
	s_wait_alu 0xfffd
	v_cndmask_b32_e64 v2, 0, 1, vcc_lo
	v_cmp_ne_u32_e32 vcc_lo, 0, v4
	s_delay_alu instid0(VALU_DEP_2) | instskip(SKIP_3) | instid1(VALU_DEP_2)
	v_and_or_b32 v2, 0xffe, v6, v2
	s_wait_alu 0xfffd
	v_cndmask_b32_e64 v4, 0, 1, vcc_lo
	v_sub_nc_u32_e32 v6, 0x3f1, v9
	v_and_or_b32 v4, 0xffe, v8, v4
	v_med3_i32 v8, v10, 0, 13
	v_or_b32_e32 v10, 0x1000, v2
	s_delay_alu instid0(VALU_DEP_4) | instskip(NEXT) | instid1(VALU_DEP_4)
	v_med3_i32 v6, v6, 0, 13
	v_or_b32_e32 v11, 0x1000, v4
	s_delay_alu instid0(VALU_DEP_3) | instskip(NEXT) | instid1(VALU_DEP_2)
	v_lshrrev_b32_e32 v12, v8, v10
	v_lshrrev_b32_e32 v13, v6, v11
	s_delay_alu instid0(VALU_DEP_2) | instskip(NEXT) | instid1(VALU_DEP_2)
	v_lshlrev_b32_e32 v8, v8, v12
	v_lshlrev_b32_e32 v6, v6, v13
	s_delay_alu instid0(VALU_DEP_2) | instskip(SKIP_2) | instid1(VALU_DEP_3)
	v_cmp_ne_u32_e32 vcc_lo, v8, v10
	s_wait_alu 0xfffd
	v_cndmask_b32_e64 v8, 0, 1, vcc_lo
	v_cmp_ne_u32_e32 vcc_lo, v6, v11
	s_delay_alu instid0(VALU_DEP_2) | instskip(SKIP_3) | instid1(VALU_DEP_2)
	v_or_b32_e32 v8, v12, v8
	v_add_nc_u32_e32 v7, 0xfffffc10, v7
	s_wait_alu 0xfffd
	v_cndmask_b32_e64 v6, 0, 1, vcc_lo
	v_lshl_or_b32 v10, v7, 12, v2
	s_delay_alu instid0(VALU_DEP_2) | instskip(SKIP_2) | instid1(VALU_DEP_2)
	v_or_b32_e32 v6, v13, v6
	v_add_nc_u32_e32 v9, 0xfffffc10, v9
	v_cmp_gt_i32_e32 vcc_lo, 1, v7
	v_lshl_or_b32 v11, v9, 12, v4
	s_wait_alu 0xfffd
	v_cndmask_b32_e32 v8, v10, v8, vcc_lo
	v_cmp_gt_i32_e32 vcc_lo, 1, v9
	s_delay_alu instid0(VALU_DEP_2)
	v_and_b32_e32 v10, 7, v8
	s_wait_alu 0xfffd
	v_cndmask_b32_e32 v6, v11, v6, vcc_lo
	v_cmp_ne_u32_e32 vcc_lo, 0, v2
	v_lshrrev_b32_e32 v8, 2, v8
	v_cmp_eq_u32_e64 s0, 3, v10
	s_wait_alu 0xfffd
	v_cndmask_b32_e64 v2, 0, 1, vcc_lo
	v_cmp_ne_u32_e32 vcc_lo, 0, v4
	s_delay_alu instid0(VALU_DEP_2) | instskip(SKIP_3) | instid1(VALU_DEP_2)
	v_lshl_or_b32 v2, v2, 9, 0x7c00
	s_wait_alu 0xfffd
	v_cndmask_b32_e64 v4, 0, 1, vcc_lo
	v_cmp_lt_i32_e32 vcc_lo, 5, v10
	v_lshl_or_b32 v4, v4, 9, 0x7c00
	s_or_b32 vcc_lo, s0, vcc_lo
	s_wait_alu 0xfffe
	v_add_co_ci_u32_e32 v8, vcc_lo, 0, v8, vcc_lo
	v_and_b32_e32 v11, 7, v6
	v_lshrrev_b32_e32 v6, 2, v6
	s_delay_alu instid0(VALU_DEP_2) | instskip(SKIP_1) | instid1(VALU_DEP_1)
	v_cmp_lt_i32_e64 s1, 5, v11
	v_cmp_eq_u32_e64 s2, 3, v11
	s_or_b32 vcc_lo, s2, s1
	s_wait_alu 0xfffe
	v_add_co_ci_u32_e32 v6, vcc_lo, 0, v6, vcc_lo
	v_cmp_gt_i32_e32 vcc_lo, 31, v7
	s_wait_alu 0xfffd
	v_cndmask_b32_e32 v8, 0x7c00, v8, vcc_lo
	v_cmp_gt_i32_e32 vcc_lo, 31, v9
	s_wait_alu 0xfffd
	v_cndmask_b32_e32 v6, 0x7c00, v6, vcc_lo
	v_cmp_eq_u32_e32 vcc_lo, 0x40f, v7
	s_wait_alu 0xfffd
	v_cndmask_b32_e32 v2, v8, v2, vcc_lo
	v_cmp_eq_u32_e32 vcc_lo, 0x40f, v9
	s_delay_alu instid0(VALU_DEP_2)
	v_and_or_b32 v2, 0x8000, v3, v2
	s_wait_alu 0xfffd
	v_cndmask_b32_e32 v4, v6, v4, vcc_lo
	v_add_co_u32 v0, vcc_lo, v0, s8
	s_wait_alu 0xfffd
	v_add_co_ci_u32_e32 v1, vcc_lo, s9, v1, vcc_lo
	s_delay_alu instid0(VALU_DEP_3) | instskip(SKIP_1) | instid1(VALU_DEP_1)
	v_and_or_b32 v3, 0x8000, v5, v4
	v_and_b32_e32 v2, 0xffff, v2
	v_lshl_or_b32 v2, v3, 16, v2
	global_store_b32 v[0:1], v2, off
	global_load_b32 v4, v[31:32], off offset:1860
	v_add_nc_u32_e32 v2, 0x740, v67
	ds_load_2addr_b32 v[2:3], v2 offset0:1 offset1:241
	s_wait_dscnt 0x0
	v_lshrrev_b32_e32 v5, 16, v2
	s_wait_loadcnt 0x0
	v_lshrrev_b32_e32 v6, 16, v4
	s_delay_alu instid0(VALU_DEP_1) | instskip(SKIP_1) | instid1(VALU_DEP_2)
	v_mul_f16_e32 v7, v5, v6
	v_mul_f16_e32 v6, v2, v6
	v_fmac_f16_e32 v7, v2, v4
	s_delay_alu instid0(VALU_DEP_2) | instskip(NEXT) | instid1(VALU_DEP_2)
	v_fma_f16 v2, v4, v5, -v6
	v_cvt_f32_f16_e32 v4, v7
	s_delay_alu instid0(VALU_DEP_2) | instskip(NEXT) | instid1(VALU_DEP_2)
	v_cvt_f32_f16_e32 v2, v2
	v_cvt_f64_f32_e32 v[4:5], v4
	s_delay_alu instid0(VALU_DEP_2) | instskip(NEXT) | instid1(VALU_DEP_2)
	v_cvt_f64_f32_e32 v[6:7], v2
	v_mul_f64_e32 v[4:5], s[6:7], v[4:5]
	s_delay_alu instid0(VALU_DEP_2) | instskip(NEXT) | instid1(VALU_DEP_2)
	v_mul_f64_e32 v[6:7], s[6:7], v[6:7]
	v_and_or_b32 v2, 0x1ff, v5, v4
	s_delay_alu instid0(VALU_DEP_2)
	v_and_or_b32 v6, 0x1ff, v7, v6
	v_lshrrev_b32_e32 v4, 8, v5
	v_bfe_u32 v8, v5, 20, 11
	v_lshrrev_b32_e32 v9, 8, v7
	v_cmp_ne_u32_e32 vcc_lo, 0, v2
	v_bfe_u32 v10, v7, 20, 11
	v_lshrrev_b32_e32 v5, 16, v5
	v_sub_nc_u32_e32 v11, 0x3f1, v8
	v_add_nc_u32_e32 v8, 0xfffffc10, v8
	s_wait_alu 0xfffd
	v_cndmask_b32_e64 v2, 0, 1, vcc_lo
	v_cmp_ne_u32_e32 vcc_lo, 0, v6
	v_lshrrev_b32_e32 v7, 16, v7
	s_delay_alu instid0(VALU_DEP_3) | instskip(SKIP_4) | instid1(VALU_DEP_3)
	v_and_or_b32 v2, 0xffe, v4, v2
	s_wait_alu 0xfffd
	v_cndmask_b32_e64 v6, 0, 1, vcc_lo
	v_sub_nc_u32_e32 v4, 0x3f1, v10
	v_add_nc_u32_e32 v10, 0xfffffc10, v10
	v_and_or_b32 v6, 0xffe, v9, v6
	v_med3_i32 v9, v11, 0, 13
	v_or_b32_e32 v11, 0x1000, v2
	v_med3_i32 v4, v4, 0, 13
	s_delay_alu instid0(VALU_DEP_4) | instskip(NEXT) | instid1(VALU_DEP_3)
	v_or_b32_e32 v12, 0x1000, v6
	v_lshrrev_b32_e32 v13, v9, v11
	s_delay_alu instid0(VALU_DEP_2) | instskip(NEXT) | instid1(VALU_DEP_2)
	v_lshrrev_b32_e32 v14, v4, v12
	v_lshlrev_b32_e32 v9, v9, v13
	s_delay_alu instid0(VALU_DEP_2) | instskip(NEXT) | instid1(VALU_DEP_2)
	v_lshlrev_b32_e32 v4, v4, v14
	v_cmp_ne_u32_e32 vcc_lo, v9, v11
	v_lshl_or_b32 v11, v8, 12, v2
	s_wait_alu 0xfffd
	v_cndmask_b32_e64 v9, 0, 1, vcc_lo
	v_cmp_ne_u32_e32 vcc_lo, v4, v12
	v_lshl_or_b32 v12, v10, 12, v6
	s_delay_alu instid0(VALU_DEP_3) | instskip(SKIP_3) | instid1(VALU_DEP_2)
	v_or_b32_e32 v9, v13, v9
	s_wait_alu 0xfffd
	v_cndmask_b32_e64 v4, 0, 1, vcc_lo
	v_cmp_gt_i32_e32 vcc_lo, 1, v8
	v_or_b32_e32 v4, v14, v4
	s_wait_alu 0xfffd
	v_cndmask_b32_e32 v9, v11, v9, vcc_lo
	v_cmp_gt_i32_e32 vcc_lo, 1, v10
	s_wait_alu 0xfffd
	s_delay_alu instid0(VALU_DEP_2) | instskip(SKIP_2) | instid1(VALU_DEP_3)
	v_dual_cndmask_b32 v4, v12, v4 :: v_dual_and_b32 v11, 7, v9
	v_cmp_ne_u32_e32 vcc_lo, 0, v2
	v_lshrrev_b32_e32 v9, 2, v9
	v_cmp_eq_u32_e64 s0, 3, v11
	s_delay_alu instid0(VALU_DEP_4)
	v_and_b32_e32 v12, 7, v4
	s_wait_alu 0xfffd
	v_cndmask_b32_e64 v2, 0, 1, vcc_lo
	v_cmp_ne_u32_e32 vcc_lo, 0, v6
	v_lshrrev_b32_e32 v4, 2, v4
	v_cmp_lt_i32_e64 s1, 5, v12
	v_cmp_eq_u32_e64 s2, 3, v12
	s_wait_alu 0xfffd
	v_cndmask_b32_e64 v6, 0, 1, vcc_lo
	v_cmp_lt_i32_e32 vcc_lo, 5, v11
	v_lshl_or_b32 v2, v2, 9, 0x7c00
	s_delay_alu instid0(VALU_DEP_3)
	v_lshl_or_b32 v6, v6, 9, 0x7c00
	s_or_b32 vcc_lo, s0, vcc_lo
	s_wait_alu 0xfffe
	v_add_co_ci_u32_e32 v9, vcc_lo, 0, v9, vcc_lo
	s_or_b32 vcc_lo, s2, s1
	s_wait_alu 0xfffe
	v_add_co_ci_u32_e32 v4, vcc_lo, 0, v4, vcc_lo
	v_cmp_gt_i32_e32 vcc_lo, 31, v8
	s_wait_alu 0xfffd
	v_cndmask_b32_e32 v9, 0x7c00, v9, vcc_lo
	v_cmp_gt_i32_e32 vcc_lo, 31, v10
	s_wait_alu 0xfffd
	v_cndmask_b32_e32 v4, 0x7c00, v4, vcc_lo
	v_cmp_eq_u32_e32 vcc_lo, 0x40f, v8
	s_wait_alu 0xfffd
	v_cndmask_b32_e32 v2, v9, v2, vcc_lo
	v_cmp_eq_u32_e32 vcc_lo, 0x40f, v10
	s_delay_alu instid0(VALU_DEP_2)
	v_and_or_b32 v2, 0x8000, v5, v2
	s_wait_alu 0xfffd
	v_cndmask_b32_e32 v4, v4, v6, vcc_lo
	v_add_co_u32 v0, vcc_lo, v0, s4
	s_wait_alu 0xfffd
	v_add_co_ci_u32_e32 v1, vcc_lo, s5, v1, vcc_lo
	s_delay_alu instid0(VALU_DEP_3) | instskip(SKIP_1) | instid1(VALU_DEP_1)
	v_and_or_b32 v4, 0x8000, v7, v4
	v_and_b32_e32 v2, 0xffff, v2
	v_lshl_or_b32 v2, v4, 16, v2
	v_lshrrev_b32_e32 v4, 16, v3
	global_store_b32 v[0:1], v2, off
	global_load_b32 v2, v[31:32], off offset:2820
	s_wait_loadcnt 0x0
	v_lshrrev_b32_e32 v5, 16, v2
	s_delay_alu instid0(VALU_DEP_1) | instskip(SKIP_1) | instid1(VALU_DEP_2)
	v_mul_f16_e32 v6, v4, v5
	v_mul_f16_e32 v5, v3, v5
	v_fmac_f16_e32 v6, v3, v2
	s_delay_alu instid0(VALU_DEP_2) | instskip(NEXT) | instid1(VALU_DEP_2)
	v_fma_f16 v2, v2, v4, -v5
	v_cvt_f32_f16_e32 v3, v6
	s_delay_alu instid0(VALU_DEP_2) | instskip(NEXT) | instid1(VALU_DEP_2)
	v_cvt_f32_f16_e32 v4, v2
	v_cvt_f64_f32_e32 v[2:3], v3
	s_delay_alu instid0(VALU_DEP_2) | instskip(NEXT) | instid1(VALU_DEP_2)
	v_cvt_f64_f32_e32 v[4:5], v4
	v_mul_f64_e32 v[2:3], s[6:7], v[2:3]
	s_delay_alu instid0(VALU_DEP_2) | instskip(NEXT) | instid1(VALU_DEP_2)
	v_mul_f64_e32 v[4:5], s[6:7], v[4:5]
	v_and_or_b32 v2, 0x1ff, v3, v2
	s_delay_alu instid0(VALU_DEP_2)
	v_and_or_b32 v4, 0x1ff, v5, v4
	v_lshrrev_b32_e32 v6, 8, v3
	v_bfe_u32 v7, v3, 20, 11
	v_lshrrev_b32_e32 v8, 8, v5
	v_cmp_ne_u32_e32 vcc_lo, 0, v2
	v_bfe_u32 v9, v5, 20, 11
	v_lshrrev_b32_e32 v3, 16, v3
	v_sub_nc_u32_e32 v10, 0x3f1, v7
	v_add_nc_u32_e32 v7, 0xfffffc10, v7
	s_wait_alu 0xfffd
	v_cndmask_b32_e64 v2, 0, 1, vcc_lo
	v_cmp_ne_u32_e32 vcc_lo, 0, v4
	v_lshrrev_b32_e32 v5, 16, v5
	s_delay_alu instid0(VALU_DEP_3) | instskip(SKIP_4) | instid1(VALU_DEP_3)
	v_and_or_b32 v2, 0xffe, v6, v2
	s_wait_alu 0xfffd
	v_cndmask_b32_e64 v4, 0, 1, vcc_lo
	v_sub_nc_u32_e32 v6, 0x3f1, v9
	v_add_nc_u32_e32 v9, 0xfffffc10, v9
	v_and_or_b32 v4, 0xffe, v8, v4
	v_med3_i32 v8, v10, 0, 13
	v_or_b32_e32 v10, 0x1000, v2
	v_med3_i32 v6, v6, 0, 13
	s_delay_alu instid0(VALU_DEP_4) | instskip(NEXT) | instid1(VALU_DEP_3)
	v_or_b32_e32 v11, 0x1000, v4
	v_lshrrev_b32_e32 v12, v8, v10
	s_delay_alu instid0(VALU_DEP_2) | instskip(NEXT) | instid1(VALU_DEP_2)
	v_lshrrev_b32_e32 v13, v6, v11
	v_lshlrev_b32_e32 v8, v8, v12
	s_delay_alu instid0(VALU_DEP_2) | instskip(NEXT) | instid1(VALU_DEP_2)
	v_lshlrev_b32_e32 v6, v6, v13
	v_cmp_ne_u32_e32 vcc_lo, v8, v10
	v_lshl_or_b32 v10, v7, 12, v2
	s_wait_alu 0xfffd
	v_cndmask_b32_e64 v8, 0, 1, vcc_lo
	v_cmp_ne_u32_e32 vcc_lo, v6, v11
	v_lshl_or_b32 v11, v9, 12, v4
	s_delay_alu instid0(VALU_DEP_3) | instskip(SKIP_3) | instid1(VALU_DEP_2)
	v_or_b32_e32 v8, v12, v8
	s_wait_alu 0xfffd
	v_cndmask_b32_e64 v6, 0, 1, vcc_lo
	v_cmp_gt_i32_e32 vcc_lo, 1, v7
	v_or_b32_e32 v6, v13, v6
	s_wait_alu 0xfffd
	v_cndmask_b32_e32 v8, v10, v8, vcc_lo
	v_cmp_gt_i32_e32 vcc_lo, 1, v9
	s_delay_alu instid0(VALU_DEP_2)
	v_and_b32_e32 v10, 7, v8
	s_wait_alu 0xfffd
	v_cndmask_b32_e32 v6, v11, v6, vcc_lo
	v_cmp_ne_u32_e32 vcc_lo, 0, v2
	v_lshrrev_b32_e32 v8, 2, v8
	v_cmp_eq_u32_e64 s0, 3, v10
	s_delay_alu instid0(VALU_DEP_4)
	v_and_b32_e32 v11, 7, v6
	s_wait_alu 0xfffd
	v_cndmask_b32_e64 v2, 0, 1, vcc_lo
	v_cmp_ne_u32_e32 vcc_lo, 0, v4
	v_lshrrev_b32_e32 v6, 2, v6
	v_cmp_lt_i32_e64 s1, 5, v11
	v_cmp_eq_u32_e64 s2, 3, v11
	s_wait_alu 0xfffd
	v_cndmask_b32_e64 v4, 0, 1, vcc_lo
	v_cmp_lt_i32_e32 vcc_lo, 5, v10
	v_lshl_or_b32 v2, v2, 9, 0x7c00
	s_delay_alu instid0(VALU_DEP_3)
	v_lshl_or_b32 v4, v4, 9, 0x7c00
	s_or_b32 vcc_lo, s0, vcc_lo
	s_wait_alu 0xfffe
	v_add_co_ci_u32_e32 v8, vcc_lo, 0, v8, vcc_lo
	s_or_b32 vcc_lo, s2, s1
	s_wait_alu 0xfffe
	v_add_co_ci_u32_e32 v6, vcc_lo, 0, v6, vcc_lo
	v_cmp_gt_i32_e32 vcc_lo, 31, v7
	s_wait_alu 0xfffd
	v_cndmask_b32_e32 v8, 0x7c00, v8, vcc_lo
	v_cmp_gt_i32_e32 vcc_lo, 31, v9
	s_wait_alu 0xfffd
	v_cndmask_b32_e32 v6, 0x7c00, v6, vcc_lo
	v_cmp_eq_u32_e32 vcc_lo, 0x40f, v7
	s_wait_alu 0xfffd
	v_cndmask_b32_e32 v2, v8, v2, vcc_lo
	v_cmp_eq_u32_e32 vcc_lo, 0x40f, v9
	s_delay_alu instid0(VALU_DEP_2)
	v_and_or_b32 v2, 0x8000, v3, v2
	s_wait_alu 0xfffd
	v_cndmask_b32_e32 v4, v6, v4, vcc_lo
	v_add_co_u32 v0, vcc_lo, v0, s4
	s_wait_alu 0xfffd
	v_add_co_ci_u32_e32 v1, vcc_lo, s5, v1, vcc_lo
	s_delay_alu instid0(VALU_DEP_3) | instskip(SKIP_1) | instid1(VALU_DEP_1)
	v_and_or_b32 v3, 0x8000, v5, v4
	v_and_b32_e32 v2, 0xffff, v2
	v_lshl_or_b32 v2, v3, 16, v2
	global_store_b32 v[0:1], v2, off
	global_load_b32 v4, v[31:32], off offset:3780
	v_add_nc_u32_e32 v2, 0xec0, v67
	ds_load_2addr_b32 v[2:3], v2 offset0:1 offset1:241
	s_wait_dscnt 0x0
	v_lshrrev_b32_e32 v5, 16, v2
	s_wait_loadcnt 0x0
	v_lshrrev_b32_e32 v6, 16, v4
	s_delay_alu instid0(VALU_DEP_1) | instskip(SKIP_1) | instid1(VALU_DEP_2)
	v_mul_f16_e32 v7, v5, v6
	v_mul_f16_e32 v6, v2, v6
	v_fmac_f16_e32 v7, v2, v4
	s_delay_alu instid0(VALU_DEP_2) | instskip(NEXT) | instid1(VALU_DEP_2)
	v_fma_f16 v2, v4, v5, -v6
	v_cvt_f32_f16_e32 v4, v7
	s_delay_alu instid0(VALU_DEP_2) | instskip(NEXT) | instid1(VALU_DEP_2)
	v_cvt_f32_f16_e32 v2, v2
	v_cvt_f64_f32_e32 v[4:5], v4
	s_delay_alu instid0(VALU_DEP_2) | instskip(NEXT) | instid1(VALU_DEP_2)
	v_cvt_f64_f32_e32 v[6:7], v2
	v_mul_f64_e32 v[4:5], s[6:7], v[4:5]
	s_delay_alu instid0(VALU_DEP_2) | instskip(NEXT) | instid1(VALU_DEP_2)
	v_mul_f64_e32 v[6:7], s[6:7], v[6:7]
	v_and_or_b32 v2, 0x1ff, v5, v4
	s_delay_alu instid0(VALU_DEP_2)
	v_and_or_b32 v6, 0x1ff, v7, v6
	v_lshrrev_b32_e32 v4, 8, v5
	v_bfe_u32 v8, v5, 20, 11
	v_lshrrev_b32_e32 v9, 8, v7
	v_cmp_ne_u32_e32 vcc_lo, 0, v2
	v_bfe_u32 v10, v7, 20, 11
	v_lshrrev_b32_e32 v5, 16, v5
	v_sub_nc_u32_e32 v11, 0x3f1, v8
	v_add_nc_u32_e32 v8, 0xfffffc10, v8
	s_wait_alu 0xfffd
	v_cndmask_b32_e64 v2, 0, 1, vcc_lo
	v_cmp_ne_u32_e32 vcc_lo, 0, v6
	v_lshrrev_b32_e32 v7, 16, v7
	s_delay_alu instid0(VALU_DEP_3) | instskip(SKIP_4) | instid1(VALU_DEP_3)
	v_and_or_b32 v2, 0xffe, v4, v2
	s_wait_alu 0xfffd
	v_cndmask_b32_e64 v6, 0, 1, vcc_lo
	v_sub_nc_u32_e32 v4, 0x3f1, v10
	v_add_nc_u32_e32 v10, 0xfffffc10, v10
	v_and_or_b32 v6, 0xffe, v9, v6
	v_med3_i32 v9, v11, 0, 13
	v_or_b32_e32 v11, 0x1000, v2
	v_med3_i32 v4, v4, 0, 13
	s_delay_alu instid0(VALU_DEP_4) | instskip(NEXT) | instid1(VALU_DEP_3)
	v_or_b32_e32 v12, 0x1000, v6
	v_lshrrev_b32_e32 v13, v9, v11
	s_delay_alu instid0(VALU_DEP_2) | instskip(NEXT) | instid1(VALU_DEP_2)
	v_lshrrev_b32_e32 v14, v4, v12
	v_lshlrev_b32_e32 v9, v9, v13
	s_delay_alu instid0(VALU_DEP_2) | instskip(NEXT) | instid1(VALU_DEP_2)
	v_lshlrev_b32_e32 v4, v4, v14
	v_cmp_ne_u32_e32 vcc_lo, v9, v11
	v_lshl_or_b32 v11, v8, 12, v2
	s_wait_alu 0xfffd
	v_cndmask_b32_e64 v9, 0, 1, vcc_lo
	v_cmp_ne_u32_e32 vcc_lo, v4, v12
	v_lshl_or_b32 v12, v10, 12, v6
	s_delay_alu instid0(VALU_DEP_3) | instskip(SKIP_3) | instid1(VALU_DEP_2)
	v_or_b32_e32 v9, v13, v9
	s_wait_alu 0xfffd
	v_cndmask_b32_e64 v4, 0, 1, vcc_lo
	v_cmp_gt_i32_e32 vcc_lo, 1, v8
	v_or_b32_e32 v4, v14, v4
	s_wait_alu 0xfffd
	v_cndmask_b32_e32 v9, v11, v9, vcc_lo
	v_cmp_gt_i32_e32 vcc_lo, 1, v10
	s_wait_alu 0xfffd
	s_delay_alu instid0(VALU_DEP_2) | instskip(SKIP_2) | instid1(VALU_DEP_3)
	v_dual_cndmask_b32 v4, v12, v4 :: v_dual_and_b32 v11, 7, v9
	v_cmp_ne_u32_e32 vcc_lo, 0, v2
	v_lshrrev_b32_e32 v9, 2, v9
	v_cmp_eq_u32_e64 s0, 3, v11
	s_delay_alu instid0(VALU_DEP_4)
	v_and_b32_e32 v12, 7, v4
	s_wait_alu 0xfffd
	v_cndmask_b32_e64 v2, 0, 1, vcc_lo
	v_cmp_ne_u32_e32 vcc_lo, 0, v6
	v_lshrrev_b32_e32 v4, 2, v4
	v_cmp_lt_i32_e64 s1, 5, v12
	v_cmp_eq_u32_e64 s2, 3, v12
	s_wait_alu 0xfffd
	v_cndmask_b32_e64 v6, 0, 1, vcc_lo
	v_cmp_lt_i32_e32 vcc_lo, 5, v11
	v_lshl_or_b32 v2, v2, 9, 0x7c00
	s_delay_alu instid0(VALU_DEP_3)
	v_lshl_or_b32 v6, v6, 9, 0x7c00
	s_or_b32 vcc_lo, s0, vcc_lo
	s_wait_alu 0xfffe
	v_add_co_ci_u32_e32 v9, vcc_lo, 0, v9, vcc_lo
	s_or_b32 vcc_lo, s2, s1
	s_wait_alu 0xfffe
	v_add_co_ci_u32_e32 v4, vcc_lo, 0, v4, vcc_lo
	v_cmp_gt_i32_e32 vcc_lo, 31, v8
	s_wait_alu 0xfffd
	v_cndmask_b32_e32 v9, 0x7c00, v9, vcc_lo
	v_cmp_gt_i32_e32 vcc_lo, 31, v10
	s_wait_alu 0xfffd
	v_cndmask_b32_e32 v4, 0x7c00, v4, vcc_lo
	v_cmp_eq_u32_e32 vcc_lo, 0x40f, v8
	s_wait_alu 0xfffd
	v_cndmask_b32_e32 v2, v9, v2, vcc_lo
	v_cmp_eq_u32_e32 vcc_lo, 0x40f, v10
	s_delay_alu instid0(VALU_DEP_2)
	v_and_or_b32 v2, 0x8000, v5, v2
	s_wait_alu 0xfffd
	v_cndmask_b32_e32 v4, v4, v6, vcc_lo
	v_add_co_u32 v0, vcc_lo, v0, s4
	s_wait_alu 0xfffd
	v_add_co_ci_u32_e32 v1, vcc_lo, s5, v1, vcc_lo
	s_delay_alu instid0(VALU_DEP_3) | instskip(SKIP_1) | instid1(VALU_DEP_1)
	v_and_or_b32 v4, 0x8000, v7, v4
	v_and_b32_e32 v2, 0xffff, v2
	v_lshl_or_b32 v2, v4, 16, v2
	v_lshrrev_b32_e32 v4, 16, v3
	global_store_b32 v[0:1], v2, off
	global_load_b32 v2, v[31:32], off offset:4740
	s_wait_loadcnt 0x0
	v_lshrrev_b32_e32 v5, 16, v2
	s_delay_alu instid0(VALU_DEP_1) | instskip(SKIP_1) | instid1(VALU_DEP_2)
	v_mul_f16_e32 v6, v4, v5
	v_mul_f16_e32 v5, v3, v5
	v_fmac_f16_e32 v6, v3, v2
	s_delay_alu instid0(VALU_DEP_2) | instskip(NEXT) | instid1(VALU_DEP_2)
	v_fma_f16 v2, v2, v4, -v5
	v_cvt_f32_f16_e32 v3, v6
	s_delay_alu instid0(VALU_DEP_2) | instskip(NEXT) | instid1(VALU_DEP_2)
	v_cvt_f32_f16_e32 v4, v2
	v_cvt_f64_f32_e32 v[2:3], v3
	s_delay_alu instid0(VALU_DEP_2) | instskip(NEXT) | instid1(VALU_DEP_2)
	v_cvt_f64_f32_e32 v[4:5], v4
	v_mul_f64_e32 v[2:3], s[6:7], v[2:3]
	s_delay_alu instid0(VALU_DEP_2) | instskip(NEXT) | instid1(VALU_DEP_2)
	v_mul_f64_e32 v[4:5], s[6:7], v[4:5]
	v_and_or_b32 v2, 0x1ff, v3, v2
	s_delay_alu instid0(VALU_DEP_2)
	v_and_or_b32 v4, 0x1ff, v5, v4
	v_lshrrev_b32_e32 v6, 8, v3
	v_bfe_u32 v7, v3, 20, 11
	v_lshrrev_b32_e32 v8, 8, v5
	v_cmp_ne_u32_e32 vcc_lo, 0, v2
	v_bfe_u32 v9, v5, 20, 11
	v_lshrrev_b32_e32 v3, 16, v3
	v_sub_nc_u32_e32 v10, 0x3f1, v7
	v_add_nc_u32_e32 v7, 0xfffffc10, v7
	s_wait_alu 0xfffd
	v_cndmask_b32_e64 v2, 0, 1, vcc_lo
	v_cmp_ne_u32_e32 vcc_lo, 0, v4
	v_lshrrev_b32_e32 v5, 16, v5
	s_delay_alu instid0(VALU_DEP_3) | instskip(SKIP_4) | instid1(VALU_DEP_3)
	v_and_or_b32 v2, 0xffe, v6, v2
	s_wait_alu 0xfffd
	v_cndmask_b32_e64 v4, 0, 1, vcc_lo
	v_sub_nc_u32_e32 v6, 0x3f1, v9
	v_add_nc_u32_e32 v9, 0xfffffc10, v9
	v_and_or_b32 v4, 0xffe, v8, v4
	v_med3_i32 v8, v10, 0, 13
	v_or_b32_e32 v10, 0x1000, v2
	v_med3_i32 v6, v6, 0, 13
	s_delay_alu instid0(VALU_DEP_4) | instskip(NEXT) | instid1(VALU_DEP_3)
	v_or_b32_e32 v11, 0x1000, v4
	v_lshrrev_b32_e32 v12, v8, v10
	s_delay_alu instid0(VALU_DEP_2) | instskip(NEXT) | instid1(VALU_DEP_2)
	v_lshrrev_b32_e32 v13, v6, v11
	v_lshlrev_b32_e32 v8, v8, v12
	s_delay_alu instid0(VALU_DEP_2) | instskip(NEXT) | instid1(VALU_DEP_2)
	v_lshlrev_b32_e32 v6, v6, v13
	v_cmp_ne_u32_e32 vcc_lo, v8, v10
	v_lshl_or_b32 v10, v7, 12, v2
	s_wait_alu 0xfffd
	v_cndmask_b32_e64 v8, 0, 1, vcc_lo
	v_cmp_ne_u32_e32 vcc_lo, v6, v11
	v_lshl_or_b32 v11, v9, 12, v4
	s_delay_alu instid0(VALU_DEP_3) | instskip(SKIP_3) | instid1(VALU_DEP_2)
	v_or_b32_e32 v8, v12, v8
	s_wait_alu 0xfffd
	v_cndmask_b32_e64 v6, 0, 1, vcc_lo
	v_cmp_gt_i32_e32 vcc_lo, 1, v7
	v_or_b32_e32 v6, v13, v6
	s_wait_alu 0xfffd
	v_cndmask_b32_e32 v8, v10, v8, vcc_lo
	v_cmp_gt_i32_e32 vcc_lo, 1, v9
	s_delay_alu instid0(VALU_DEP_2)
	v_and_b32_e32 v10, 7, v8
	s_wait_alu 0xfffd
	v_cndmask_b32_e32 v6, v11, v6, vcc_lo
	v_cmp_ne_u32_e32 vcc_lo, 0, v2
	v_lshrrev_b32_e32 v8, 2, v8
	v_cmp_eq_u32_e64 s0, 3, v10
	s_delay_alu instid0(VALU_DEP_4)
	v_and_b32_e32 v11, 7, v6
	s_wait_alu 0xfffd
	v_cndmask_b32_e64 v2, 0, 1, vcc_lo
	v_cmp_ne_u32_e32 vcc_lo, 0, v4
	v_lshrrev_b32_e32 v6, 2, v6
	v_cmp_lt_i32_e64 s1, 5, v11
	v_cmp_eq_u32_e64 s2, 3, v11
	s_wait_alu 0xfffd
	v_cndmask_b32_e64 v4, 0, 1, vcc_lo
	v_cmp_lt_i32_e32 vcc_lo, 5, v10
	v_lshl_or_b32 v2, v2, 9, 0x7c00
	s_delay_alu instid0(VALU_DEP_3)
	v_lshl_or_b32 v4, v4, 9, 0x7c00
	s_or_b32 vcc_lo, s0, vcc_lo
	s_wait_alu 0xfffe
	v_add_co_ci_u32_e32 v8, vcc_lo, 0, v8, vcc_lo
	s_or_b32 vcc_lo, s2, s1
	s_wait_alu 0xfffe
	v_add_co_ci_u32_e32 v6, vcc_lo, 0, v6, vcc_lo
	v_cmp_gt_i32_e32 vcc_lo, 31, v7
	s_wait_alu 0xfffd
	v_cndmask_b32_e32 v8, 0x7c00, v8, vcc_lo
	v_cmp_gt_i32_e32 vcc_lo, 31, v9
	s_wait_alu 0xfffd
	v_cndmask_b32_e32 v6, 0x7c00, v6, vcc_lo
	v_cmp_eq_u32_e32 vcc_lo, 0x40f, v7
	s_wait_alu 0xfffd
	v_cndmask_b32_e32 v2, v8, v2, vcc_lo
	v_cmp_eq_u32_e32 vcc_lo, 0x40f, v9
	s_delay_alu instid0(VALU_DEP_2)
	v_and_or_b32 v2, 0x8000, v3, v2
	s_wait_alu 0xfffd
	v_cndmask_b32_e32 v4, v6, v4, vcc_lo
	v_add_co_u32 v0, vcc_lo, v0, s4
	s_wait_alu 0xfffd
	v_add_co_ci_u32_e32 v1, vcc_lo, s5, v1, vcc_lo
	s_delay_alu instid0(VALU_DEP_3) | instskip(SKIP_1) | instid1(VALU_DEP_1)
	v_and_or_b32 v3, 0x8000, v5, v4
	v_and_b32_e32 v2, 0xffff, v2
	v_lshl_or_b32 v2, v3, 16, v2
	global_store_b32 v[0:1], v2, off
.LBB0_31:
	s_nop 0
	s_sendmsg sendmsg(MSG_DEALLOC_VGPRS)
	s_endpgm
	.section	.rodata,"a",@progbits
	.p2align	6, 0x0
	.amdhsa_kernel bluestein_single_fwd_len1200_dim1_half_op_CI_CI
		.amdhsa_group_segment_fixed_size 14400
		.amdhsa_private_segment_fixed_size 0
		.amdhsa_kernarg_size 104
		.amdhsa_user_sgpr_count 2
		.amdhsa_user_sgpr_dispatch_ptr 0
		.amdhsa_user_sgpr_queue_ptr 0
		.amdhsa_user_sgpr_kernarg_segment_ptr 1
		.amdhsa_user_sgpr_dispatch_id 0
		.amdhsa_user_sgpr_private_segment_size 0
		.amdhsa_wavefront_size32 1
		.amdhsa_uses_dynamic_stack 0
		.amdhsa_enable_private_segment 0
		.amdhsa_system_sgpr_workgroup_id_x 1
		.amdhsa_system_sgpr_workgroup_id_y 0
		.amdhsa_system_sgpr_workgroup_id_z 0
		.amdhsa_system_sgpr_workgroup_info 0
		.amdhsa_system_vgpr_workitem_id 0
		.amdhsa_next_free_vgpr 223
		.amdhsa_next_free_sgpr 18
		.amdhsa_reserve_vcc 1
		.amdhsa_float_round_mode_32 0
		.amdhsa_float_round_mode_16_64 0
		.amdhsa_float_denorm_mode_32 3
		.amdhsa_float_denorm_mode_16_64 3
		.amdhsa_fp16_overflow 0
		.amdhsa_workgroup_processor_mode 1
		.amdhsa_memory_ordered 1
		.amdhsa_forward_progress 0
		.amdhsa_round_robin_scheduling 0
		.amdhsa_exception_fp_ieee_invalid_op 0
		.amdhsa_exception_fp_denorm_src 0
		.amdhsa_exception_fp_ieee_div_zero 0
		.amdhsa_exception_fp_ieee_overflow 0
		.amdhsa_exception_fp_ieee_underflow 0
		.amdhsa_exception_fp_ieee_inexact 0
		.amdhsa_exception_int_div_zero 0
	.end_amdhsa_kernel
	.text
.Lfunc_end0:
	.size	bluestein_single_fwd_len1200_dim1_half_op_CI_CI, .Lfunc_end0-bluestein_single_fwd_len1200_dim1_half_op_CI_CI
                                        ; -- End function
	.section	.AMDGPU.csdata,"",@progbits
; Kernel info:
; codeLenInByte = 35152
; NumSgprs: 20
; NumVgprs: 223
; ScratchSize: 0
; MemoryBound: 0
; FloatMode: 240
; IeeeMode: 1
; LDSByteSize: 14400 bytes/workgroup (compile time only)
; SGPRBlocks: 2
; VGPRBlocks: 27
; NumSGPRsForWavesPerEU: 20
; NumVGPRsForWavesPerEU: 223
; Occupancy: 6
; WaveLimiterHint : 1
; COMPUTE_PGM_RSRC2:SCRATCH_EN: 0
; COMPUTE_PGM_RSRC2:USER_SGPR: 2
; COMPUTE_PGM_RSRC2:TRAP_HANDLER: 0
; COMPUTE_PGM_RSRC2:TGID_X_EN: 1
; COMPUTE_PGM_RSRC2:TGID_Y_EN: 0
; COMPUTE_PGM_RSRC2:TGID_Z_EN: 0
; COMPUTE_PGM_RSRC2:TIDIG_COMP_CNT: 0
	.text
	.p2alignl 7, 3214868480
	.fill 96, 4, 3214868480
	.type	__hip_cuid_a1a414c4b31e27af,@object ; @__hip_cuid_a1a414c4b31e27af
	.section	.bss,"aw",@nobits
	.globl	__hip_cuid_a1a414c4b31e27af
__hip_cuid_a1a414c4b31e27af:
	.byte	0                               ; 0x0
	.size	__hip_cuid_a1a414c4b31e27af, 1

	.ident	"AMD clang version 19.0.0git (https://github.com/RadeonOpenCompute/llvm-project roc-6.4.0 25133 c7fe45cf4b819c5991fe208aaa96edf142730f1d)"
	.section	".note.GNU-stack","",@progbits
	.addrsig
	.addrsig_sym __hip_cuid_a1a414c4b31e27af
	.amdgpu_metadata
---
amdhsa.kernels:
  - .args:
      - .actual_access:  read_only
        .address_space:  global
        .offset:         0
        .size:           8
        .value_kind:     global_buffer
      - .actual_access:  read_only
        .address_space:  global
        .offset:         8
        .size:           8
        .value_kind:     global_buffer
      - .actual_access:  read_only
        .address_space:  global
        .offset:         16
        .size:           8
        .value_kind:     global_buffer
      - .actual_access:  read_only
        .address_space:  global
        .offset:         24
        .size:           8
        .value_kind:     global_buffer
      - .actual_access:  read_only
        .address_space:  global
        .offset:         32
        .size:           8
        .value_kind:     global_buffer
      - .offset:         40
        .size:           8
        .value_kind:     by_value
      - .address_space:  global
        .offset:         48
        .size:           8
        .value_kind:     global_buffer
      - .address_space:  global
        .offset:         56
        .size:           8
        .value_kind:     global_buffer
      - .address_space:  global
        .offset:         64
        .size:           8
        .value_kind:     global_buffer
      - .address_space:  global
        .offset:         72
        .size:           8
        .value_kind:     global_buffer
      - .offset:         80
        .size:           4
        .value_kind:     by_value
      - .address_space:  global
        .offset:         88
        .size:           8
        .value_kind:     global_buffer
      - .address_space:  global
        .offset:         96
        .size:           8
        .value_kind:     global_buffer
    .group_segment_fixed_size: 14400
    .kernarg_segment_align: 8
    .kernarg_segment_size: 104
    .language:       OpenCL C
    .language_version:
      - 2
      - 0
    .max_flat_workgroup_size: 225
    .name:           bluestein_single_fwd_len1200_dim1_half_op_CI_CI
    .private_segment_fixed_size: 0
    .sgpr_count:     20
    .sgpr_spill_count: 0
    .symbol:         bluestein_single_fwd_len1200_dim1_half_op_CI_CI.kd
    .uniform_work_group_size: 1
    .uses_dynamic_stack: false
    .vgpr_count:     223
    .vgpr_spill_count: 0
    .wavefront_size: 32
    .workgroup_processor_mode: 1
amdhsa.target:   amdgcn-amd-amdhsa--gfx1201
amdhsa.version:
  - 1
  - 2
...

	.end_amdgpu_metadata
